;; amdgpu-corpus repo=ROCm/rocFFT kind=compiled arch=gfx1201 opt=O3
	.text
	.amdgcn_target "amdgcn-amd-amdhsa--gfx1201"
	.amdhsa_code_object_version 6
	.protected	bluestein_single_back_len1800_dim1_dp_op_CI_CI ; -- Begin function bluestein_single_back_len1800_dim1_dp_op_CI_CI
	.globl	bluestein_single_back_len1800_dim1_dp_op_CI_CI
	.p2align	8
	.type	bluestein_single_back_len1800_dim1_dp_op_CI_CI,@function
bluestein_single_back_len1800_dim1_dp_op_CI_CI: ; @bluestein_single_back_len1800_dim1_dp_op_CI_CI
; %bb.0:
	s_load_b128 s[16:19], s[0:1], 0x28
	v_mul_u32_u24_e32 v1, 0x16d, v0
	s_mov_b32 s2, exec_lo
	v_mov_b32_e32 v197, 0
	s_delay_alu instid0(VALU_DEP_2) | instskip(NEXT) | instid1(VALU_DEP_1)
	v_lshrrev_b32_e32 v1, 16, v1
	v_add_nc_u32_e32 v196, ttmp9, v1
	s_wait_kmcnt 0x0
	s_delay_alu instid0(VALU_DEP_1)
	v_cmpx_gt_u64_e64 s[16:17], v[196:197]
	s_cbranch_execz .LBB0_18
; %bb.1:
	s_clause 0x1
	s_load_b128 s[4:7], s[0:1], 0x18
	s_load_b128 s[8:11], s[0:1], 0x0
	v_mul_lo_u16 v1, 0xb4, v1
	s_mov_b32 s16, 0x4755a5e
	s_mov_b32 s17, 0x3fe2cf23
	;; [unrolled: 1-line block ×4, first 2 shown]
	v_sub_nc_u16 v40, v0, v1
	s_delay_alu instid0(VALU_DEP_1) | instskip(NEXT) | instid1(VALU_DEP_1)
	v_and_b32_e32 v199, 0xffff, v40
	v_lshlrev_b32_e32 v200, 4, v199
	s_wait_kmcnt 0x0
	s_load_b128 s[12:15], s[4:5], 0x0
	s_wait_kmcnt 0x0
	v_mad_co_u64_u32 v[0:1], null, s14, v196, 0
	v_mad_co_u64_u32 v[2:3], null, s12, v199, 0
	s_mul_u64 s[2:3], s[12:13], 0xb40
	s_mov_b32 s14, s16
	s_delay_alu instid0(VALU_DEP_1) | instskip(SKIP_1) | instid1(VALU_DEP_1)
	v_mad_co_u64_u32 v[4:5], null, s15, v196, v[1:2]
	s_mov_b32 s15, 0xbfe2cf23
	v_mad_co_u64_u32 v[5:6], null, s13, v199, v[3:4]
	v_mov_b32_e32 v1, v4
	s_mov_b32 s12, 0x134454ff
	s_mov_b32 s13, 0x3fee6f0e
	s_delay_alu instid0(VALU_DEP_1) | instskip(NEXT) | instid1(VALU_DEP_3)
	v_lshlrev_b64_e32 v[0:1], 4, v[0:1]
	v_mov_b32_e32 v3, v5
	s_delay_alu instid0(VALU_DEP_2) | instskip(NEXT) | instid1(VALU_DEP_2)
	v_add_co_u32 v10, vcc_lo, s18, v0
	v_lshlrev_b64_e32 v[8:9], 4, v[2:3]
	s_delay_alu instid0(VALU_DEP_4)
	v_add_co_ci_u32_e32 v11, vcc_lo, s19, v1, vcc_lo
	s_clause 0x1
	global_load_b128 v[0:3], v200, s[8:9]
	global_load_b128 v[4:7], v200, s[8:9] offset:2880
	s_mov_b32 s18, 0x372fe950
	s_mov_b32 s19, 0x3fd3c6ef
	v_add_co_u32 v32, vcc_lo, v10, v8
	s_wait_alu 0xfffd
	v_add_co_ci_u32_e32 v33, vcc_lo, v11, v9, vcc_lo
	s_clause 0x1
	global_load_b128 v[8:11], v200, s[8:9] offset:5760
	global_load_b128 v[12:15], v200, s[8:9] offset:8640
	v_add_co_u32 v34, vcc_lo, v32, s2
	s_wait_alu 0xfffd
	v_add_co_ci_u32_e32 v35, vcc_lo, s3, v33, vcc_lo
	s_clause 0x1
	global_load_b128 v[16:19], v200, s[8:9] offset:11520
	global_load_b128 v[20:23], v200, s[8:9] offset:14400
	;; [unrolled: 6-line block ×3, first 2 shown]
	v_add_co_u32 v38, vcc_lo, v36, s2
	s_wait_alu 0xfffd
	v_add_co_ci_u32_e32 v39, vcc_lo, s3, v37, vcc_lo
	s_clause 0x1
	global_load_b128 v[41:44], v[32:33], off
	global_load_b128 v[45:48], v[34:35], off
	v_add_co_u32 v57, vcc_lo, v38, s2
	s_wait_alu 0xfffd
	v_add_co_ci_u32_e32 v58, vcc_lo, s3, v39, vcc_lo
	s_clause 0x1
	global_load_b128 v[49:52], v[36:37], off
	global_load_b128 v[53:56], v[38:39], off
	v_add_co_u32 v32, vcc_lo, v57, s2
	s_wait_alu 0xfffd
	v_add_co_ci_u32_e32 v33, vcc_lo, s3, v58, vcc_lo
	global_load_b128 v[57:60], v[57:58], off
	v_add_co_u32 v34, vcc_lo, v32, s2
	s_wait_alu 0xfffd
	v_add_co_ci_u32_e32 v35, vcc_lo, s3, v33, vcc_lo
	;; [unrolled: 4-line block ×4, first 2 shown]
	s_delay_alu instid0(VALU_DEP_2) | instskip(SKIP_1) | instid1(VALU_DEP_2)
	v_add_co_u32 v77, vcc_lo, v32, s2
	s_wait_alu 0xfffd
	v_add_co_ci_u32_e32 v78, vcc_lo, s3, v33, vcc_lo
	global_load_b128 v[69:72], v[36:37], off
	global_load_b128 v[73:76], v[32:33], off
	s_clause 0x1
	global_load_b128 v[32:35], v200, s[8:9] offset:23040
	global_load_b128 v[36:39], v200, s[8:9] offset:25920
	global_load_b128 v[77:80], v[77:78], off
	s_load_b128 s[4:7], s[6:7], 0x0
	s_mov_b32 s3, 0xbfee6f0e
	s_mov_b32 s2, s12
	v_cmp_gt_u16_e32 vcc_lo, 0x78, v40
	s_wait_loadcnt 0xb
	v_mul_f64_e32 v[81:82], v[43:44], v[2:3]
	v_mul_f64_e32 v[83:84], v[41:42], v[2:3]
	s_wait_loadcnt 0xa
	v_mul_f64_e32 v[85:86], v[47:48], v[6:7]
	v_mul_f64_e32 v[87:88], v[45:46], v[6:7]
	;; [unrolled: 3-line block ×10, first 2 shown]
	v_fma_f64 v[41:42], v[41:42], v[0:1], v[81:82]
	v_fma_f64 v[43:44], v[43:44], v[0:1], -v[83:84]
	v_fma_f64 v[45:46], v[45:46], v[4:5], v[85:86]
	v_fma_f64 v[47:48], v[47:48], v[4:5], -v[87:88]
	;; [unrolled: 2-line block ×10, first 2 shown]
	ds_store_b128 v200, v[41:44]
	ds_store_b128 v200, v[45:48] offset:2880
	ds_store_b128 v200, v[49:52] offset:5760
	;; [unrolled: 1-line block ×9, first 2 shown]
	global_wb scope:SCOPE_SE
	s_wait_dscnt 0x0
	s_wait_kmcnt 0x0
	s_barrier_signal -1
	s_barrier_wait -1
	global_inv scope:SCOPE_SE
	ds_load_b128 v[41:44], v200 offset:8640
	ds_load_b128 v[45:48], v200 offset:14400
	;; [unrolled: 1-line block ×5, first 2 shown]
	s_wait_dscnt 0x3
	v_add_f64_e64 v[105:106], v[41:42], -v[45:46]
	s_wait_dscnt 0x2
	v_add_f64_e32 v[61:62], v[45:46], v[49:50]
	s_wait_dscnt 0x1
	v_add_f64_e32 v[63:64], v[43:44], v[55:56]
	v_add_f64_e32 v[65:66], v[41:42], v[53:54]
	;; [unrolled: 1-line block ×3, first 2 shown]
	v_add_f64_e64 v[81:82], v[43:44], -v[55:56]
	v_add_f64_e64 v[83:84], v[47:48], -v[51:52]
	;; [unrolled: 1-line block ×11, first 2 shown]
	s_wait_dscnt 0x0
	v_add_f64_e32 v[41:42], v[57:58], v[41:42]
	v_add_f64_e32 v[43:44], v[59:60], v[43:44]
	v_fma_f64 v[87:88], v[61:62], -0.5, v[57:58]
	v_fma_f64 v[89:90], v[63:64], -0.5, v[59:60]
	;; [unrolled: 1-line block ×4, first 2 shown]
	ds_load_b128 v[61:64], v200 offset:5760
	ds_load_b128 v[65:68], v200 offset:11520
	;; [unrolled: 1-line block ×4, first 2 shown]
	ds_load_b128 v[77:80], v200
	global_wb scope:SCOPE_SE
	s_wait_dscnt 0x0
	s_barrier_signal -1
	s_barrier_wait -1
	global_inv scope:SCOPE_SE
	v_add_f64_e32 v[41:42], v[41:42], v[45:46]
	v_add_f64_e32 v[43:44], v[43:44], v[47:48]
	;; [unrolled: 1-line block ×8, first 2 shown]
	v_add_f64_e64 v[131:132], v[63:64], -v[75:76]
	v_add_f64_e64 v[133:134], v[67:68], -v[71:72]
	;; [unrolled: 1-line block ×4, first 2 shown]
	v_fma_f64 v[119:120], v[81:82], s[12:13], v[87:88]
	v_fma_f64 v[121:122], v[85:86], s[12:13], v[89:90]
	;; [unrolled: 1-line block ×3, first 2 shown]
	s_wait_alu 0xfffe
	v_fma_f64 v[91:92], v[83:84], s[2:3], v[91:92]
	v_fma_f64 v[87:88], v[81:82], s[2:3], v[87:88]
	v_fma_f64 v[89:90], v[85:86], s[2:3], v[89:90]
	v_fma_f64 v[127:128], v[93:94], s[12:13], v[95:96]
	v_fma_f64 v[95:96], v[93:94], s[2:3], v[95:96]
	v_add_f64_e32 v[41:42], v[41:42], v[49:50]
	v_add_f64_e32 v[43:44], v[43:44], v[51:52]
	v_fma_f64 v[57:58], v[97:98], -0.5, v[77:78]
	v_fma_f64 v[77:78], v[99:100], -0.5, v[77:78]
	;; [unrolled: 1-line block ×4, first 2 shown]
	v_add_f64_e32 v[99:100], v[105:106], v[107:108]
	v_add_f64_e32 v[101:102], v[109:110], v[111:112]
	;; [unrolled: 1-line block ×3, first 2 shown]
	v_add_f64_e64 v[115:116], v[63:64], -v[67:68]
	v_add_f64_e64 v[63:64], v[67:68], -v[63:64]
	v_add_f64_e32 v[67:68], v[135:136], v[67:68]
	v_add_f64_e64 v[111:112], v[73:74], -v[69:70]
	v_add_f64_e64 v[113:114], v[69:70], -v[73:74]
	v_fma_f64 v[105:106], v[83:84], s[16:17], v[119:120]
	v_fma_f64 v[107:108], v[93:94], s[14:15], v[121:122]
	;; [unrolled: 1-line block ×6, first 2 shown]
	v_add_f64_e32 v[87:88], v[117:118], v[125:126]
	v_fma_f64 v[91:92], v[85:86], s[16:17], v[127:128]
	v_add_f64_e64 v[93:94], v[61:62], -v[65:66]
	v_add_f64_e64 v[61:62], v[65:66], -v[61:62]
	v_add_f64_e32 v[65:66], v[129:130], v[65:66]
	v_add_f64_e64 v[117:118], v[75:76], -v[71:72]
	v_fma_f64 v[85:86], v[85:86], s[14:15], v[95:96]
	v_add_f64_e64 v[119:120], v[71:72], -v[75:76]
	v_add_f64_e32 v[53:54], v[41:42], v[53:54]
	v_add_f64_e32 v[55:56], v[43:44], v[55:56]
	v_fma_f64 v[45:46], v[131:132], s[12:13], v[57:58]
	v_fma_f64 v[47:48], v[131:132], s[2:3], v[57:58]
	;; [unrolled: 1-line block ×8, first 2 shown]
	v_add_f64_e32 v[67:68], v[67:68], v[71:72]
	v_fma_f64 v[95:96], v[99:100], s[18:19], v[105:106]
	v_fma_f64 v[105:106], v[103:104], s[18:19], v[107:108]
	v_fma_f64 v[107:108], v[101:102], s[18:19], v[109:110]
	v_fma_f64 v[81:82], v[101:102], s[18:19], v[81:82]
	v_fma_f64 v[83:84], v[99:100], s[18:19], v[83:84]
	v_fma_f64 v[89:90], v[103:104], s[18:19], v[89:90]
	v_fma_f64 v[91:92], v[87:88], s[18:19], v[91:92]
	v_add_f64_e32 v[93:94], v[93:94], v[111:112]
	v_add_f64_e32 v[61:62], v[61:62], v[113:114]
	;; [unrolled: 1-line block ×5, first 2 shown]
	v_fma_f64 v[45:46], v[133:134], s[16:17], v[45:46]
	v_fma_f64 v[47:48], v[133:134], s[14:15], v[47:48]
	;; [unrolled: 1-line block ×9, first 2 shown]
	v_add_f64_e32 v[67:68], v[67:68], v[75:76]
                                        ; implicit-def: $vgpr124_vgpr125
	v_mul_f64_e32 v[79:80], s[20:21], v[95:96]
	v_mul_f64_e32 v[95:96], s[14:15], v[95:96]
	;; [unrolled: 1-line block ×8, first 2 shown]
	v_add_f64_e32 v[65:66], v[65:66], v[73:74]
	v_fma_f64 v[73:74], v[93:94], s[18:19], v[45:46]
	v_fma_f64 v[75:76], v[93:94], s[18:19], v[47:48]
	;; [unrolled: 1-line block ×8, first 2 shown]
	v_add_f64_e32 v[43:44], v[67:68], v[55:56]
	v_add_f64_e64 v[47:48], v[67:68], -v[55:56]
	v_fma_f64 v[79:80], v[77:78], s[16:17], v[79:80]
	v_fma_f64 v[77:78], v[77:78], s[20:21], v[95:96]
	;; [unrolled: 1-line block ×4, first 2 shown]
	v_fma_f64 v[87:88], v[89:90], s[12:13], -v[87:88]
	v_fma_f64 v[89:90], v[91:92], s[16:17], -v[97:98]
	;; [unrolled: 1-line block ×4, first 2 shown]
	s_load_b64 s[2:3], s[0:1], 0x38
                                        ; implicit-def: $vgpr104_vgpr105
	v_add_f64_e32 v[41:42], v[65:66], v[53:54]
	v_add_f64_e64 v[45:46], v[65:66], -v[53:54]
	v_mul_lo_u16 v65, v40, 10
	s_delay_alu instid0(VALU_DEP_1) | instskip(NEXT) | instid1(VALU_DEP_1)
	v_and_b32_e32 v65, 0xffff, v65
	v_lshlrev_b32_e32 v203, 4, v65
	v_add_f64_e32 v[49:50], v[73:74], v[79:80]
	v_add_f64_e32 v[51:52], v[113:114], v[77:78]
	;; [unrolled: 1-line block ×8, first 2 shown]
	v_add_f64_e64 v[80:81], v[73:74], -v[79:80]
	v_add_f64_e64 v[82:83], v[113:114], -v[77:78]
	;; [unrolled: 1-line block ×8, first 2 shown]
	ds_store_b128 v203, v[41:44]
	ds_store_b128 v203, v[49:52] offset:16
	ds_store_b128 v203, v[53:56] offset:32
	;; [unrolled: 1-line block ×9, first 2 shown]
	global_wb scope:SCOPE_SE
	s_wait_dscnt 0x0
	s_wait_kmcnt 0x0
	s_barrier_signal -1
	s_barrier_wait -1
	global_inv scope:SCOPE_SE
	ds_load_b128 v[88:91], v200
	ds_load_b128 v[112:115], v200 offset:4800
	ds_load_b128 v[96:99], v200 offset:9600
	ds_load_b128 v[116:119], v200 offset:14400
	ds_load_b128 v[100:103], v200 offset:19200
	ds_load_b128 v[120:123], v200 offset:24000
	s_and_saveexec_b32 s0, vcc_lo
	s_cbranch_execz .LBB0_3
; %bb.2:
	ds_load_b128 v[80:83], v200 offset:2880
	ds_load_b128 v[92:95], v200 offset:7680
	;; [unrolled: 1-line block ×6, first 2 shown]
.LBB0_3:
	s_wait_alu 0xfffe
	s_or_b32 exec_lo, exec_lo, s0
	v_and_b32_e32 v129, 0xff, v199
	v_add_co_u32 v128, null, 0xb4, v199
	s_mov_b32 s13, 0xbfebb67a
	s_delay_alu instid0(VALU_DEP_2) | instskip(NEXT) | instid1(VALU_DEP_2)
	v_mul_lo_u16 v40, 0xcd, v129
	v_and_b32_e32 v41, 0xffff, v128
	s_delay_alu instid0(VALU_DEP_2) | instskip(NEXT) | instid1(VALU_DEP_2)
	v_lshrrev_b16 v184, 11, v40
	v_mul_u32_u24_e32 v40, 0xcccd, v41
	s_delay_alu instid0(VALU_DEP_2) | instskip(NEXT) | instid1(VALU_DEP_2)
	v_mul_lo_u16 v41, v184, 10
	v_lshrrev_b32_e32 v201, 19, v40
	s_delay_alu instid0(VALU_DEP_2) | instskip(NEXT) | instid1(VALU_DEP_2)
	v_sub_nc_u16 v40, v199, v41
	v_mul_lo_u16 v41, v201, 10
	s_delay_alu instid0(VALU_DEP_2) | instskip(NEXT) | instid1(VALU_DEP_2)
	v_and_b32_e32 v185, 0xff, v40
	v_sub_nc_u16 v202, v128, v41
	s_delay_alu instid0(VALU_DEP_2) | instskip(NEXT) | instid1(VALU_DEP_2)
	v_mad_co_u64_u32 v[44:45], null, 0x50, v185, s[10:11]
	v_mul_lo_u16 v40, 0x50, v202
	s_clause 0x1
	global_load_b128 v[68:71], v[44:45], off offset:32
	global_load_b128 v[72:75], v[44:45], off offset:64
	v_and_b32_e32 v40, 0xffff, v40
	s_delay_alu instid0(VALU_DEP_1)
	v_add_co_u32 v46, s0, s10, v40
	s_wait_alu 0xf1ff
	v_add_co_ci_u32_e64 v47, null, s11, 0, s0
	s_clause 0x7
	global_load_b128 v[64:67], v[46:47], off offset:32
	global_load_b128 v[76:79], v[46:47], off offset:64
	global_load_b128 v[52:55], v[44:45], off
	global_load_b128 v[40:43], v[46:47], off
	global_load_b128 v[60:63], v[44:45], off offset:16
	global_load_b128 v[56:59], v[44:45], off offset:48
	;; [unrolled: 1-line block ×4, first 2 shown]
	s_mov_b32 s0, 0xe8584caa
	s_mov_b32 s1, 0x3febb67a
	s_wait_alu 0xfffe
	s_mov_b32 s12, s0
	global_wb scope:SCOPE_SE
	s_wait_loadcnt_dscnt 0x0
	s_barrier_signal -1
	s_barrier_wait -1
	global_inv scope:SCOPE_SE
	v_mul_f64_e32 v[130:131], v[118:119], v[70:71]
	v_mul_f64_e32 v[132:133], v[116:117], v[70:71]
	v_mul_f64_e32 v[134:135], v[120:121], v[74:75]
	v_mul_f64_e32 v[136:137], v[122:123], v[74:75]
	v_mul_f64_e32 v[138:139], v[110:111], v[66:67]
	v_mul_f64_e32 v[140:141], v[108:109], v[66:67]
	v_mul_f64_e32 v[142:143], v[124:125], v[78:79]
	v_mul_f64_e32 v[144:145], v[126:127], v[78:79]
	v_mul_f64_e32 v[146:147], v[114:115], v[54:55]
	v_mul_f64_e32 v[148:149], v[112:113], v[54:55]
	v_mul_f64_e32 v[150:151], v[106:107], v[46:47]
	v_mul_f64_e32 v[152:153], v[104:105], v[46:47]
	v_fma_f64 v[130:131], v[116:117], v[68:69], -v[130:131]
	v_fma_f64 v[132:133], v[118:119], v[68:69], v[132:133]
	v_fma_f64 v[122:123], v[122:123], v[72:73], v[134:135]
	v_fma_f64 v[120:121], v[120:121], v[72:73], -v[136:137]
	v_mul_f64_e32 v[134:135], v[94:95], v[42:43]
	v_mul_f64_e32 v[136:137], v[92:93], v[42:43]
	v_fma_f64 v[116:117], v[108:109], v[64:65], -v[138:139]
	v_fma_f64 v[118:119], v[110:111], v[64:65], v[140:141]
	v_fma_f64 v[110:111], v[126:127], v[76:77], v[142:143]
	v_fma_f64 v[108:109], v[124:125], v[76:77], -v[144:145]
	v_mul_f64_e32 v[124:125], v[98:99], v[62:63]
	v_mul_f64_e32 v[126:127], v[96:97], v[62:63]
	;; [unrolled: 1-line block ×4, first 2 shown]
	v_fma_f64 v[112:113], v[112:113], v[52:53], -v[146:147]
	v_fma_f64 v[114:115], v[114:115], v[52:53], v[148:149]
	v_mul_f64_e32 v[146:147], v[86:87], v[50:51]
	v_mul_f64_e32 v[148:149], v[84:85], v[50:51]
	v_add_f64_e32 v[142:143], v[132:133], v[122:123]
	v_add_f64_e32 v[144:145], v[130:131], v[120:121]
	v_fma_f64 v[92:93], v[92:93], v[40:41], -v[134:135]
	v_fma_f64 v[94:95], v[94:95], v[40:41], v[136:137]
	v_add_f64_e32 v[134:135], v[118:119], v[110:111]
	v_add_f64_e32 v[136:137], v[116:117], v[108:109]
	v_fma_f64 v[124:125], v[96:97], v[60:61], -v[124:125]
	v_fma_f64 v[126:127], v[98:99], v[60:61], v[126:127]
	v_fma_f64 v[100:101], v[100:101], v[56:57], -v[138:139]
	v_fma_f64 v[102:103], v[102:103], v[56:57], v[140:141]
	v_add_f64_e64 v[138:139], v[132:133], -v[122:123]
	v_add_f64_e64 v[140:141], v[130:131], -v[120:121]
	v_fma_f64 v[96:97], v[84:85], v[48:49], -v[146:147]
	v_fma_f64 v[98:99], v[86:87], v[48:49], v[148:149]
	v_fma_f64 v[84:85], v[104:105], v[44:45], -v[150:151]
	v_fma_f64 v[86:87], v[106:107], v[44:45], v[152:153]
	v_add_f64_e64 v[104:105], v[118:119], -v[110:111]
	v_add_f64_e64 v[106:107], v[116:117], -v[108:109]
	v_fma_f64 v[142:143], v[142:143], -0.5, v[114:115]
	v_fma_f64 v[144:145], v[144:145], -0.5, v[112:113]
	v_add_f64_e32 v[112:113], v[112:113], v[130:131]
	v_add_f64_e32 v[114:115], v[114:115], v[132:133]
	v_fma_f64 v[134:135], v[134:135], -0.5, v[94:95]
	v_fma_f64 v[136:137], v[136:137], -0.5, v[92:93]
	v_add_f64_e32 v[146:147], v[124:125], v[100:101]
	v_add_f64_e32 v[148:149], v[126:127], v[102:103]
	v_add_f64_e64 v[160:161], v[96:97], -v[84:85]
	v_add_f64_e64 v[130:131], v[98:99], -v[86:87]
	s_wait_alu 0xfffe
	v_fma_f64 v[150:151], v[140:141], s[12:13], v[142:143]
	v_fma_f64 v[152:153], v[138:139], s[12:13], v[144:145]
	;; [unrolled: 1-line block ×4, first 2 shown]
	v_add_f64_e32 v[142:143], v[96:97], v[84:85]
	v_add_f64_e32 v[144:145], v[98:99], v[86:87]
	v_add_f64_e32 v[172:173], v[112:113], v[120:121]
	v_fma_f64 v[154:155], v[106:107], s[12:13], v[134:135]
	v_fma_f64 v[156:157], v[104:105], s[12:13], v[136:137]
	;; [unrolled: 1-line block ×4, first 2 shown]
	v_add_f64_e32 v[104:105], v[88:89], v[124:125]
	v_add_f64_e64 v[106:107], v[126:127], -v[102:103]
	v_add_f64_e32 v[126:127], v[90:91], v[126:127]
	v_fma_f64 v[88:89], v[146:147], -0.5, v[88:89]
	v_add_f64_e64 v[124:125], v[124:125], -v[100:101]
	v_fma_f64 v[90:91], v[148:149], -0.5, v[90:91]
	v_add_f64_e32 v[174:175], v[114:115], v[122:123]
	v_mul_f64_e32 v[132:133], s[0:1], v[150:151]
	v_mul_f64_e32 v[146:147], -0.5, v[152:153]
	v_mul_f64_e32 v[148:149], s[12:13], v[138:139]
	v_mul_f64_e32 v[158:159], -0.5, v[140:141]
	v_fma_f64 v[142:143], v[142:143], -0.5, v[80:81]
	v_fma_f64 v[144:145], v[144:145], -0.5, v[82:83]
	v_mul_f64_e32 v[162:163], s[0:1], v[154:155]
	v_mul_f64_e32 v[164:165], -0.5, v[156:157]
	v_mul_f64_e32 v[166:167], s[12:13], v[136:137]
	v_mul_f64_e32 v[168:169], -0.5, v[134:135]
	v_add_f64_e32 v[170:171], v[104:105], v[100:101]
	v_add_f64_e32 v[126:127], v[126:127], v[102:103]
	v_fma_f64 v[176:177], v[106:107], s[0:1], v[88:89]
	v_fma_f64 v[178:179], v[106:107], s[12:13], v[88:89]
	;; [unrolled: 1-line block ×4, first 2 shown]
	v_fma_f64 v[138:139], v[138:139], 0.5, v[132:133]
	v_fma_f64 v[140:141], v[140:141], s[0:1], v[146:147]
	v_fma_f64 v[146:147], v[150:151], 0.5, v[148:149]
	v_fma_f64 v[148:149], v[152:153], s[12:13], v[158:159]
	v_fma_f64 v[88:89], v[130:131], s[0:1], v[142:143]
	;; [unrolled: 1-line block ×5, first 2 shown]
	v_fma_f64 v[90:91], v[136:137], 0.5, v[162:163]
	v_fma_f64 v[102:103], v[134:135], s[0:1], v[164:165]
	v_fma_f64 v[112:113], v[154:155], 0.5, v[166:167]
	v_fma_f64 v[114:115], v[156:157], s[12:13], v[168:169]
	v_add_f64_e32 v[120:121], v[170:171], v[172:173]
	v_add_f64_e32 v[122:123], v[126:127], v[174:175]
	v_add_f64_e64 v[124:125], v[170:171], -v[172:173]
	v_add_f64_e64 v[126:127], v[126:127], -v[174:175]
	v_add_f64_e32 v[130:131], v[176:177], v[138:139]
	v_add_f64_e32 v[134:135], v[178:179], v[140:141]
	;; [unrolled: 1-line block ×4, first 2 shown]
	v_add_f64_e64 v[144:145], v[182:183], -v[148:149]
	v_add_f64_e64 v[138:139], v[176:177], -v[138:139]
	;; [unrolled: 1-line block ×8, first 2 shown]
	v_and_b32_e32 v146, 0xffff, v184
	s_delay_alu instid0(VALU_DEP_1) | instskip(NEXT) | instid1(VALU_DEP_1)
	v_mul_u32_u24_e32 v146, 60, v146
	v_add_lshl_u32 v204, v146, v185, 4
	ds_store_b128 v204, v[120:123]
	ds_store_b128 v204, v[130:133] offset:160
	ds_store_b128 v204, v[134:137] offset:320
	;; [unrolled: 1-line block ×5, first 2 shown]
	s_and_saveexec_b32 s0, vcc_lo
	s_cbranch_execz .LBB0_5
; %bb.4:
	v_add_f64_e32 v[82:83], v[82:83], v[98:99]
	v_add_f64_e32 v[94:95], v[94:95], v[118:119]
	;; [unrolled: 1-line block ×4, first 2 shown]
	s_delay_alu instid0(VALU_DEP_4) | instskip(NEXT) | instid1(VALU_DEP_4)
	v_add_f64_e32 v[96:97], v[82:83], v[86:87]
	v_add_f64_e32 v[98:99], v[94:95], v[110:111]
	s_delay_alu instid0(VALU_DEP_4) | instskip(NEXT) | instid1(VALU_DEP_4)
	v_add_f64_e32 v[110:111], v[80:81], v[84:85]
	v_add_f64_e32 v[108:109], v[92:93], v[108:109]
	;; [unrolled: 1-line block ×7, first 2 shown]
	v_add_f64_e64 v[90:91], v[96:97], -v[98:99]
	v_add_f64_e32 v[92:93], v[110:111], v[108:109]
	v_add_f64_e64 v[88:89], v[110:111], -v[108:109]
	v_mad_u16 v96, v201, 60, v202
	s_delay_alu instid0(VALU_DEP_1) | instskip(NEXT) | instid1(VALU_DEP_1)
	v_and_b32_e32 v96, 0xffff, v96
	v_lshlrev_b32_e32 v96, 4, v96
	ds_store_b128 v96, v[92:95]
	ds_store_b128 v96, v[84:87] offset:160
	ds_store_b128 v96, v[80:83] offset:320
	;; [unrolled: 1-line block ×5, first 2 shown]
.LBB0_5:
	s_wait_alu 0xfffe
	s_or_b32 exec_lo, exec_lo, s0
	v_mul_lo_u16 v80, 0x89, v129
	global_wb scope:SCOPE_SE
	s_wait_dscnt 0x0
	s_barrier_signal -1
	s_barrier_wait -1
	global_inv scope:SCOPE_SE
	v_lshrrev_b16 v104, 13, v80
	s_mov_b32 s12, 0x134454ff
	s_mov_b32 s13, 0x3fee6f0e
	;; [unrolled: 1-line block ×3, first 2 shown]
	s_wait_alu 0xfffe
	s_mov_b32 s0, s12
	v_mul_lo_u16 v80, v104, 60
	s_mov_b32 s14, s16
	v_and_b32_e32 v104, 0xffff, v104
	s_delay_alu instid0(VALU_DEP_2) | instskip(NEXT) | instid1(VALU_DEP_2)
	v_sub_nc_u16 v80, v199, v80
	v_mul_u32_u24_e32 v104, 0x258, v104
	s_delay_alu instid0(VALU_DEP_2) | instskip(NEXT) | instid1(VALU_DEP_1)
	v_and_b32_e32 v105, 0xff, v80
	v_mad_co_u64_u32 v[84:85], null, 0x90, v105, s[10:11]
	s_clause 0x8
	global_load_b128 v[100:103], v[84:85], off offset:832
	global_load_b128 v[116:119], v[84:85], off offset:864
	;; [unrolled: 1-line block ×9, first 2 shown]
	ds_load_b128 v[106:109], v200 offset:8640
	ds_load_b128 v[124:127], v200 offset:14400
	;; [unrolled: 1-line block ×6, first 2 shown]
	s_wait_loadcnt_dscnt 0x805
	v_mul_f64_e32 v[145:146], v[106:107], v[102:103]
	s_wait_loadcnt_dscnt 0x704
	v_mul_f64_e32 v[156:157], v[126:127], v[118:119]
	v_mul_f64_e32 v[158:159], v[124:125], v[118:119]
	s_wait_loadcnt_dscnt 0x603
	v_mul_f64_e32 v[160:161], v[129:130], v[114:115]
	s_wait_loadcnt_dscnt 0x502
	v_mul_f64_e32 v[162:163], v[133:134], v[122:123]
	v_mul_f64_e32 v[166:167], v[131:132], v[114:115]
	;; [unrolled: 1-line block ×4, first 2 shown]
	s_wait_loadcnt_dscnt 0x401
	v_mul_f64_e32 v[168:169], v[139:140], v[82:83]
	v_mul_f64_e32 v[170:171], v[137:138], v[82:83]
	v_fma_f64 v[145:146], v[108:109], v[100:101], v[145:146]
	v_fma_f64 v[156:157], v[124:125], v[116:117], -v[156:157]
	v_fma_f64 v[158:159], v[126:127], v[116:117], v[158:159]
	v_fma_f64 v[160:161], v[131:132], v[112:113], v[160:161]
	;; [unrolled: 1-line block ×3, first 2 shown]
	v_fma_f64 v[162:163], v[129:130], v[112:113], -v[166:167]
	v_fma_f64 v[110:111], v[106:107], v[100:101], -v[110:111]
	;; [unrolled: 1-line block ×3, first 2 shown]
	ds_load_b128 v[106:109], v200 offset:11520
	ds_load_b128 v[124:127], v200 offset:17280
	;; [unrolled: 1-line block ×3, first 2 shown]
	s_wait_loadcnt_dscnt 0x303
	v_mul_f64_e32 v[164:165], v[143:144], v[98:99]
	v_mul_f64_e32 v[166:167], v[141:142], v[98:99]
	v_fma_f64 v[137:138], v[137:138], v[80:81], -v[168:169]
	v_fma_f64 v[139:140], v[139:140], v[80:81], v[170:171]
	s_wait_loadcnt_dscnt 0x202
	v_mul_f64_e32 v[172:173], v[108:109], v[94:95]
	v_mul_f64_e32 v[174:175], v[106:107], v[94:95]
	s_wait_loadcnt_dscnt 0x101
	v_mul_f64_e32 v[176:177], v[126:127], v[90:91]
	s_wait_loadcnt_dscnt 0x0
	v_mul_f64_e32 v[178:179], v[131:132], v[86:87]
	v_mul_f64_e32 v[180:181], v[124:125], v[90:91]
	;; [unrolled: 1-line block ×3, first 2 shown]
	v_add_f64_e64 v[207:208], v[145:146], -v[158:159]
	v_add_f64_e32 v[168:169], v[158:159], v[160:161]
	v_add_f64_e32 v[170:171], v[145:146], v[135:136]
	;; [unrolled: 1-line block ×3, first 2 shown]
	v_add_f64_e64 v[192:193], v[110:111], -v[156:157]
	v_add_f64_e32 v[184:185], v[110:111], v[133:134]
	v_add_f64_e64 v[194:195], v[133:134], -v[162:163]
	v_fma_f64 v[141:142], v[141:142], v[96:97], -v[164:165]
	v_fma_f64 v[143:144], v[143:144], v[96:97], v[166:167]
	v_add_f64_e64 v[197:198], v[156:157], -v[110:111]
	v_add_f64_e64 v[205:206], v[162:163], -v[133:134]
	;; [unrolled: 1-line block ×5, first 2 shown]
	v_fma_f64 v[164:165], v[106:107], v[92:93], -v[172:173]
	v_fma_f64 v[166:167], v[108:109], v[92:93], v[174:175]
	v_fma_f64 v[124:125], v[124:125], v[88:89], -v[176:177]
	v_fma_f64 v[129:130], v[129:130], v[84:85], -v[178:179]
	v_fma_f64 v[126:127], v[126:127], v[88:89], v[180:181]
	v_fma_f64 v[131:132], v[131:132], v[84:85], v[182:183]
	v_add_f64_e64 v[172:173], v[145:146], -v[135:136]
	v_add_f64_e64 v[176:177], v[110:111], -v[133:134]
	;; [unrolled: 1-line block ×4, first 2 shown]
	ds_load_b128 v[106:109], v200
	v_add_f64_e32 v[110:111], v[137:138], v[110:111]
	global_wb scope:SCOPE_SE
	s_wait_dscnt 0x0
	s_barrier_signal -1
	s_barrier_wait -1
	v_fma_f64 v[168:169], v[168:169], -0.5, v[139:140]
	v_fma_f64 v[170:171], v[170:171], -0.5, v[139:140]
	;; [unrolled: 1-line block ×3, first 2 shown]
	global_inv scope:SCOPE_SE
	v_fma_f64 v[180:181], v[184:185], -0.5, v[137:138]
	v_add_f64_e32 v[137:138], v[139:140], v[145:146]
	v_add_f64_e32 v[223:224], v[106:107], v[141:142]
	v_add_f64_e32 v[229:230], v[108:109], v[143:144]
	v_add_f64_e32 v[184:185], v[164:165], v[124:125]
	v_add_f64_e32 v[186:187], v[141:142], v[129:130]
	v_add_f64_e32 v[188:189], v[166:167], v[126:127]
	v_add_f64_e32 v[190:191], v[143:144], v[131:132]
	v_add_f64_e64 v[225:226], v[143:144], -v[131:132]
	v_add_f64_e64 v[231:232], v[141:142], -v[129:130]
	;; [unrolled: 1-line block ×4, first 2 shown]
	v_add_f64_e32 v[110:111], v[110:111], v[156:157]
	s_wait_alu 0xfffe
	v_fma_f64 v[215:216], v[176:177], s[0:1], v[168:169]
	v_fma_f64 v[217:218], v[178:179], s[12:13], v[170:171]
	v_fma_f64 v[221:222], v[172:173], s[0:1], v[182:183]
	v_fma_f64 v[182:183], v[172:173], s[12:13], v[182:183]
	v_fma_f64 v[219:220], v[174:175], s[12:13], v[180:181]
	v_fma_f64 v[180:181], v[174:175], s[0:1], v[180:181]
	v_fma_f64 v[170:171], v[178:179], s[0:1], v[170:171]
	v_fma_f64 v[168:169], v[176:177], s[12:13], v[168:169]
	v_add_f64_e32 v[137:138], v[137:138], v[158:159]
	v_fma_f64 v[139:140], v[184:185], -0.5, v[106:107]
	v_fma_f64 v[106:107], v[186:187], -0.5, v[106:107]
	;; [unrolled: 1-line block ×4, first 2 shown]
	v_add_f64_e32 v[184:185], v[192:193], v[194:195]
	v_add_f64_e32 v[186:187], v[197:198], v[205:206]
	;; [unrolled: 1-line block ×4, first 2 shown]
	v_add_f64_e64 v[207:208], v[131:132], -v[126:127]
	v_add_f64_e64 v[209:210], v[126:127], -v[131:132]
	v_add_f64_e32 v[110:111], v[110:111], v[162:163]
	v_fma_f64 v[192:193], v[178:179], s[14:15], v[215:216]
	v_fma_f64 v[194:195], v[176:177], s[14:15], v[217:218]
	;; [unrolled: 1-line block ×8, first 2 shown]
	v_add_f64_e64 v[176:177], v[141:142], -v[164:165]
	v_add_f64_e64 v[141:142], v[164:165], -v[141:142]
	;; [unrolled: 1-line block ×4, first 2 shown]
	v_add_f64_e32 v[164:165], v[223:224], v[164:165]
	v_add_f64_e32 v[166:167], v[229:230], v[166:167]
	v_add_f64_e64 v[178:179], v[129:130], -v[124:125]
	v_add_f64_e64 v[180:181], v[124:125], -v[129:130]
	v_add_f64_e32 v[137:138], v[137:138], v[160:161]
	v_fma_f64 v[156:157], v[225:226], s[12:13], v[139:140]
	v_fma_f64 v[158:159], v[227:228], s[0:1], v[106:107]
	;; [unrolled: 1-line block ×8, first 2 shown]
	v_add_f64_e32 v[110:111], v[110:111], v[133:134]
	v_fma_f64 v[192:193], v[188:189], s[18:19], v[192:193]
	v_fma_f64 v[194:195], v[190:191], s[18:19], v[194:195]
	;; [unrolled: 1-line block ×8, first 2 shown]
	v_add_f64_e32 v[143:144], v[143:144], v[209:210]
	v_add_f64_e32 v[124:125], v[164:165], v[124:125]
	;; [unrolled: 1-line block ×6, first 2 shown]
	v_fma_f64 v[156:157], v[227:228], s[16:17], v[156:157]
	v_fma_f64 v[158:159], v[225:226], s[16:17], v[158:159]
	v_fma_f64 v[160:161], v[233:234], s[14:15], v[211:212]
	v_fma_f64 v[145:146], v[233:234], s[16:17], v[145:146]
	v_fma_f64 v[162:163], v[231:232], s[14:15], v[213:214]
	v_fma_f64 v[106:107], v[225:226], s[14:15], v[106:107]
	v_fma_f64 v[108:109], v[231:232], s[16:17], v[108:109]
	v_fma_f64 v[139:140], v[227:228], s[14:15], v[139:140]
	v_mul_f64_e32 v[164:165], s[16:17], v[192:193]
	v_mul_f64_e32 v[166:167], s[12:13], v[194:195]
	;; [unrolled: 1-line block ×8, first 2 shown]
	v_add_f64_e32 v[124:125], v[124:125], v[129:130]
	v_add_f64_e32 v[126:127], v[126:127], v[131:132]
	;; [unrolled: 1-line block ×3, first 2 shown]
	v_fma_f64 v[156:157], v[176:177], s[18:19], v[156:157]
	v_fma_f64 v[158:159], v[141:142], s[18:19], v[158:159]
	;; [unrolled: 1-line block ×11, first 2 shown]
	v_fma_f64 v[166:167], v[170:171], s[12:13], -v[180:181]
	v_fma_f64 v[174:175], v[194:195], s[18:19], v[186:187]
	v_fma_f64 v[180:181], v[197:198], s[0:1], -v[188:189]
	v_fma_f64 v[170:171], v[168:169], s[16:17], -v[182:183]
	v_fma_f64 v[182:183], v[205:206], s[14:15], -v[190:191]
	v_add_lshl_u32 v205, v104, v105, 4
	v_add_co_u32 v197, s0, s8, v200
	v_add_f64_e32 v[106:107], v[124:125], v[110:111]
	v_add_f64_e64 v[124:125], v[124:125], -v[110:111]
	v_add_f64_e32 v[108:109], v[126:127], v[129:130]
	v_add_f64_e64 v[126:127], v[126:127], -v[129:130]
	s_wait_alu 0xf1ff
	v_add_co_ci_u32_e64 v198, null, s9, 0, s0
	v_cmp_gt_u16_e64 s0, 60, v199
	v_add_f64_e32 v[129:130], v[156:157], v[160:161]
	v_add_f64_e32 v[133:134], v[158:159], v[162:163]
	v_add_f64_e64 v[160:161], v[156:157], -v[160:161]
	v_add_f64_e32 v[131:132], v[209:210], v[172:173]
	v_add_f64_e32 v[137:138], v[207:208], v[166:167]
	;; [unrolled: 1-line block ×6, first 2 shown]
	v_add_f64_e64 v[164:165], v[158:159], -v[162:163]
	v_add_f64_e64 v[162:163], v[209:210], -v[172:173]
	;; [unrolled: 1-line block ×7, first 2 shown]
	ds_store_b128 v205, v[106:109]
	ds_store_b128 v205, v[129:132] offset:960
	ds_store_b128 v205, v[133:136] offset:1920
	;; [unrolled: 1-line block ×9, first 2 shown]
	global_wb scope:SCOPE_SE
	s_wait_dscnt 0x0
	s_barrier_signal -1
	s_barrier_wait -1
	global_inv scope:SCOPE_SE
	ds_load_b128 v[164:167], v200
	ds_load_b128 v[160:163], v200 offset:2880
	ds_load_b128 v[184:187], v200 offset:19200
	;; [unrolled: 1-line block ×8, first 2 shown]
	s_and_saveexec_b32 s1, s0
	s_cbranch_execz .LBB0_7
; %bb.6:
	ds_load_b128 v[156:159], v200 offset:8640
	ds_load_b128 v[148:151], v200 offset:18240
	ds_load_b128 v[152:155], v200 offset:27840
.LBB0_7:
	s_wait_alu 0xfffe
	s_or_b32 exec_lo, exec_lo, s1
	v_add_co_u32 v104, s1, 0x21c, v199
	s_wait_alu 0xf1ff
	v_add_co_ci_u32_e64 v105, null, 0, 0, s1
	v_add_co_u32 v106, s1, 0xffffffc4, v199
	s_wait_alu 0xf1ff
	v_add_co_ci_u32_e64 v107, null, 0, -1, s1
	s_mov_b32 s13, 0xbfebb67a
	s_delay_alu instid0(VALU_DEP_2) | instskip(SKIP_1) | instid1(VALU_DEP_3)
	v_cndmask_b32_e64 v104, v106, v104, s0
	v_lshlrev_b32_e32 v106, 5, v199
	v_cndmask_b32_e64 v105, v107, v105, s0
	v_lshlrev_b32_e32 v107, 5, v128
	s_clause 0x3
	global_load_b128 v[128:131], v106, s[10:11] offset:9456
	global_load_b128 v[144:147], v106, s[10:11] offset:9440
	;; [unrolled: 1-line block ×4, first 2 shown]
	v_lshlrev_b64_e32 v[104:105], 5, v[104:105]
	v_add_nc_u32_e32 v106, 0x2d00, v106
	s_delay_alu instid0(VALU_DEP_2) | instskip(SKIP_1) | instid1(VALU_DEP_3)
	v_add_co_u32 v104, s1, s10, v104
	s_wait_alu 0xf1ff
	v_add_co_ci_u32_e64 v105, s1, s11, v105, s1
	s_clause 0x3
	global_load_b128 v[140:143], v106, s[10:11] offset:9440
	global_load_b128 v[136:139], v106, s[10:11] offset:9456
	global_load_b128 v[108:111], v[104:105], off offset:9440
	global_load_b128 v[104:107], v[104:105], off offset:9456
	s_mov_b32 s10, 0xe8584caa
	s_mov_b32 s11, 0x3febb67a
	s_wait_alu 0xfffe
	s_mov_b32 s12, s10
	s_wait_loadcnt_dscnt 0x706
	v_mul_f64_e32 v[208:209], v[186:187], v[130:131]
	s_wait_loadcnt_dscnt 0x604
	v_mul_f64_e32 v[206:207], v[194:195], v[146:147]
	v_mul_f64_e32 v[210:211], v[192:193], v[146:147]
	;; [unrolled: 1-line block ×3, first 2 shown]
	s_wait_loadcnt_dscnt 0x402
	v_mul_f64_e32 v[214:215], v[190:191], v[134:135]
	v_mul_f64_e32 v[216:217], v[174:175], v[126:127]
	;; [unrolled: 1-line block ×4, first 2 shown]
	s_wait_loadcnt_dscnt 0x301
	v_mul_f64_e32 v[222:223], v[178:179], v[142:143]
	v_mul_f64_e32 v[226:227], v[176:177], v[142:143]
	s_wait_loadcnt 0x1
	v_mul_f64_e32 v[230:231], v[150:151], v[110:111]
	s_wait_loadcnt_dscnt 0x0
	v_mul_f64_e32 v[232:233], v[154:155], v[106:107]
	v_mul_f64_e32 v[234:235], v[148:149], v[110:111]
	;; [unrolled: 1-line block ×5, first 2 shown]
	v_fma_f64 v[184:185], v[184:185], v[128:129], -v[208:209]
	v_fma_f64 v[192:193], v[192:193], v[144:145], -v[206:207]
	v_fma_f64 v[194:195], v[194:195], v[144:145], v[210:211]
	v_fma_f64 v[186:187], v[186:187], v[128:129], v[212:213]
	v_fma_f64 v[188:189], v[188:189], v[132:133], -v[214:215]
	v_fma_f64 v[206:207], v[172:173], v[124:125], -v[216:217]
	v_fma_f64 v[190:191], v[190:191], v[132:133], v[218:219]
	v_fma_f64 v[208:209], v[174:175], v[124:125], v[220:221]
	v_fma_f64 v[210:211], v[176:177], v[140:141], -v[222:223]
	v_fma_f64 v[212:213], v[178:179], v[140:141], v[226:227]
	v_fma_f64 v[174:175], v[148:149], v[108:109], -v[230:231]
	v_fma_f64 v[172:173], v[152:153], v[104:105], -v[232:233]
	v_fma_f64 v[178:179], v[150:151], v[108:109], v[234:235]
	v_fma_f64 v[176:177], v[154:155], v[104:105], v[236:237]
	v_fma_f64 v[180:181], v[180:181], v[136:137], -v[224:225]
	v_fma_f64 v[182:183], v[182:183], v[136:137], v[228:229]
	v_add_f64_e32 v[148:149], v[192:193], v[184:185]
	v_add_f64_e32 v[222:223], v[164:165], v[192:193]
	;; [unrolled: 1-line block ×3, first 2 shown]
	v_add_f64_e64 v[224:225], v[194:195], -v[186:187]
	v_add_f64_e32 v[152:153], v[188:189], v[206:207]
	v_add_f64_e32 v[194:195], v[166:167], v[194:195]
	;; [unrolled: 1-line block ×4, first 2 shown]
	v_add_f64_e64 v[192:193], v[192:193], -v[184:185]
	v_add_f64_e64 v[190:191], v[190:191], -v[208:209]
	;; [unrolled: 1-line block ×3, first 2 shown]
	v_add_f64_e32 v[230:231], v[168:169], v[210:211]
	v_add_f64_e32 v[232:233], v[170:171], v[212:213]
	;; [unrolled: 1-line block ×4, first 2 shown]
	v_add_f64_e64 v[240:241], v[174:175], -v[172:173]
	v_add_f64_e32 v[220:221], v[178:179], v[176:177]
	v_add_f64_e32 v[214:215], v[210:211], v[180:181]
	;; [unrolled: 1-line block ×3, first 2 shown]
	v_add_f64_e64 v[238:239], v[178:179], -v[176:177]
	v_add_f64_e64 v[212:213], v[212:213], -v[182:183]
	;; [unrolled: 1-line block ×3, first 2 shown]
	v_fma_f64 v[148:149], v[148:149], -0.5, v[164:165]
	v_fma_f64 v[150:151], v[150:151], -0.5, v[166:167]
	;; [unrolled: 1-line block ×3, first 2 shown]
	v_add_f64_e32 v[160:161], v[222:223], v[184:185]
	v_fma_f64 v[154:155], v[154:155], -0.5, v[162:163]
	v_add_f64_e32 v[162:163], v[194:195], v[186:187]
	v_add_f64_e32 v[166:167], v[228:229], v[208:209]
	v_add_f64_e32 v[164:165], v[226:227], v[206:207]
	v_fma_f64 v[218:219], v[218:219], -0.5, v[156:157]
	v_fma_f64 v[220:221], v[220:221], -0.5, v[158:159]
	;; [unrolled: 1-line block ×4, first 2 shown]
	v_add_f64_e32 v[168:169], v[230:231], v[180:181]
	v_add_f64_e32 v[170:171], v[232:233], v[182:183]
	v_fma_f64 v[180:181], v[224:225], s[10:11], v[148:149]
	s_wait_alu 0xfffe
	v_fma_f64 v[184:185], v[224:225], s[12:13], v[148:149]
	v_fma_f64 v[182:183], v[192:193], s[12:13], v[150:151]
	v_fma_f64 v[186:187], v[192:193], s[10:11], v[150:151]
	v_fma_f64 v[188:189], v[190:191], s[10:11], v[152:153]
	v_fma_f64 v[192:193], v[190:191], s[12:13], v[152:153]
	v_fma_f64 v[190:191], v[234:235], s[12:13], v[154:155]
	v_fma_f64 v[194:195], v[234:235], s[10:11], v[154:155]
	v_fma_f64 v[148:149], v[238:239], s[10:11], v[218:219]
	v_fma_f64 v[152:153], v[238:239], s[12:13], v[218:219]
	v_fma_f64 v[150:151], v[240:241], s[12:13], v[220:221]
	v_fma_f64 v[154:155], v[240:241], s[10:11], v[220:221]
	v_fma_f64 v[206:207], v[212:213], s[10:11], v[214:215]
	v_fma_f64 v[208:209], v[236:237], s[12:13], v[216:217]
	v_fma_f64 v[210:211], v[212:213], s[12:13], v[214:215]
	v_fma_f64 v[212:213], v[236:237], s[10:11], v[216:217]
	ds_store_b128 v200, v[160:163]
	ds_store_b128 v200, v[164:167] offset:2880
	ds_store_b128 v200, v[184:187] offset:19200
	;; [unrolled: 1-line block ×8, first 2 shown]
	s_and_saveexec_b32 s1, s0
	s_cbranch_execz .LBB0_9
; %bb.8:
	v_add_f64_e32 v[158:159], v[158:159], v[178:179]
	v_add_f64_e32 v[156:157], v[156:157], v[174:175]
	s_delay_alu instid0(VALU_DEP_2) | instskip(NEXT) | instid1(VALU_DEP_2)
	v_add_f64_e32 v[158:159], v[158:159], v[176:177]
	v_add_f64_e32 v[156:157], v[156:157], v[172:173]
	ds_store_b128 v200, v[156:159] offset:8640
	ds_store_b128 v200, v[148:151] offset:18240
	;; [unrolled: 1-line block ×3, first 2 shown]
.LBB0_9:
	s_wait_alu 0xfffe
	s_or_b32 exec_lo, exec_lo, s1
	global_wb scope:SCOPE_SE
	s_wait_dscnt 0x0
	s_barrier_signal -1
	s_barrier_wait -1
	global_inv scope:SCOPE_SE
	global_load_b128 v[156:159], v[197:198], off offset:28800
	s_add_nc_u64 s[8:9], s[8:9], 0x7080
	s_clause 0x5
	global_load_b128 v[160:163], v200, s[8:9] offset:2880
	global_load_b128 v[164:167], v200, s[8:9] offset:5760
	;; [unrolled: 1-line block ×6, first 2 shown]
	ds_load_b128 v[184:187], v200
	ds_load_b128 v[188:191], v200 offset:2880
	s_mov_b32 s11, 0x3fee6f0e
	s_mov_b32 s12, 0x4755a5e
	;; [unrolled: 1-line block ×4, first 2 shown]
	s_wait_alu 0xfffe
	s_mov_b32 s14, s12
	s_mov_b32 s16, 0x372fe950
	;; [unrolled: 1-line block ×6, first 2 shown]
	s_wait_alu 0xfffe
	s_mov_b32 s20, s16
	s_wait_loadcnt_dscnt 0x601
	v_mul_f64_e32 v[192:193], v[186:187], v[158:159]
	v_mul_f64_e32 v[158:159], v[184:185], v[158:159]
	s_delay_alu instid0(VALU_DEP_2) | instskip(SKIP_3) | instid1(VALU_DEP_4)
	v_fma_f64 v[184:185], v[184:185], v[156:157], -v[192:193]
	s_wait_loadcnt_dscnt 0x500
	v_mul_f64_e32 v[192:193], v[190:191], v[162:163]
	v_mul_f64_e32 v[162:163], v[188:189], v[162:163]
	v_fma_f64 v[186:187], v[186:187], v[156:157], v[158:159]
	ds_load_b128 v[156:159], v200 offset:5760
	v_fma_f64 v[188:189], v[188:189], v[160:161], -v[192:193]
	v_fma_f64 v[190:191], v[190:191], v[160:161], v[162:163]
	ds_load_b128 v[160:163], v200 offset:8640
	s_wait_loadcnt_dscnt 0x401
	v_mul_f64_e32 v[192:193], v[158:159], v[166:167]
	v_mul_f64_e32 v[166:167], v[156:157], v[166:167]
	s_delay_alu instid0(VALU_DEP_2) | instskip(SKIP_3) | instid1(VALU_DEP_4)
	v_fma_f64 v[156:157], v[156:157], v[164:165], -v[192:193]
	s_wait_loadcnt_dscnt 0x300
	v_mul_f64_e32 v[192:193], v[162:163], v[170:171]
	v_mul_f64_e32 v[170:171], v[160:161], v[170:171]
	v_fma_f64 v[158:159], v[158:159], v[164:165], v[166:167]
	ds_load_b128 v[164:167], v200 offset:11520
	v_fma_f64 v[160:161], v[160:161], v[168:169], -v[192:193]
	v_fma_f64 v[162:163], v[162:163], v[168:169], v[170:171]
	ds_load_b128 v[168:171], v200 offset:14400
	;; [unrolled: 13-line block ×3, first 2 shown]
	s_wait_loadcnt_dscnt 0x1
	v_mul_f64_e32 v[192:193], v[174:175], v[182:183]
	v_mul_f64_e32 v[182:183], v[172:173], v[182:183]
	s_delay_alu instid0(VALU_DEP_2) | instskip(NEXT) | instid1(VALU_DEP_2)
	v_fma_f64 v[172:173], v[172:173], v[180:181], -v[192:193]
	v_fma_f64 v[174:175], v[174:175], v[180:181], v[182:183]
	s_clause 0x1
	global_load_b128 v[180:183], v200, s[8:9] offset:20160
	global_load_b128 v[192:195], v200, s[8:9] offset:23040
	s_wait_loadcnt_dscnt 0x100
	v_mul_f64_e32 v[197:198], v[178:179], v[182:183]
	v_mul_f64_e32 v[182:183], v[176:177], v[182:183]
	s_delay_alu instid0(VALU_DEP_2) | instskip(NEXT) | instid1(VALU_DEP_2)
	v_fma_f64 v[176:177], v[176:177], v[180:181], -v[197:198]
	v_fma_f64 v[178:179], v[178:179], v[180:181], v[182:183]
	ds_load_b128 v[180:183], v200 offset:23040
	ds_load_b128 v[206:209], v200 offset:25920
	s_wait_loadcnt_dscnt 0x1
	v_mul_f64_e32 v[197:198], v[182:183], v[194:195]
	v_mul_f64_e32 v[194:195], v[180:181], v[194:195]
	s_delay_alu instid0(VALU_DEP_2) | instskip(NEXT) | instid1(VALU_DEP_2)
	v_fma_f64 v[180:181], v[180:181], v[192:193], -v[197:198]
	v_fma_f64 v[182:183], v[182:183], v[192:193], v[194:195]
	global_load_b128 v[192:195], v200, s[8:9] offset:25920
	s_mov_b32 s8, 0x134454ff
	s_mov_b32 s9, 0xbfee6f0e
	s_wait_alu 0xfffe
	s_mov_b32 s10, s8
	s_wait_loadcnt_dscnt 0x0
	v_mul_f64_e32 v[197:198], v[208:209], v[194:195]
	v_mul_f64_e32 v[194:195], v[206:207], v[194:195]
	s_delay_alu instid0(VALU_DEP_2) | instskip(NEXT) | instid1(VALU_DEP_2)
	v_fma_f64 v[206:207], v[206:207], v[192:193], -v[197:198]
	v_fma_f64 v[208:209], v[208:209], v[192:193], v[194:195]
	ds_store_b128 v200, v[184:187]
	ds_store_b128 v200, v[188:191] offset:2880
	ds_store_b128 v200, v[156:159] offset:5760
	;; [unrolled: 1-line block ×9, first 2 shown]
	global_wb scope:SCOPE_SE
	s_wait_dscnt 0x0
	s_barrier_signal -1
	s_barrier_wait -1
	global_inv scope:SCOPE_SE
	ds_load_b128 v[156:159], v200
	ds_load_b128 v[160:163], v200 offset:5760
	ds_load_b128 v[164:167], v200 offset:8640
	;; [unrolled: 1-line block ×7, first 2 shown]
	s_wait_dscnt 0x6
	v_add_f64_e32 v[188:189], v[156:157], v[160:161]
	v_add_f64_e32 v[190:191], v[158:159], v[162:163]
	s_wait_dscnt 0x3
	v_add_f64_e32 v[192:193], v[160:161], v[172:173]
	v_add_f64_e32 v[194:195], v[162:163], v[174:175]
	v_add_f64_e64 v[197:198], v[162:163], -v[174:175]
	v_add_f64_e64 v[206:207], v[160:161], -v[172:173]
	s_wait_dscnt 0x2
	v_add_f64_e64 v[208:209], v[160:161], -v[176:177]
	v_add_f64_e64 v[210:211], v[176:177], -v[160:161]
	;; [unrolled: 1-line block ×4, first 2 shown]
	s_wait_dscnt 0x1
	v_add_f64_e64 v[232:233], v[164:165], -v[180:181]
	v_add_f64_e32 v[230:231], v[164:165], v[180:181]
	v_add_f64_e64 v[234:235], v[166:167], -v[182:183]
	s_wait_dscnt 0x0
	v_add_f64_e64 v[236:237], v[164:165], -v[184:185]
	v_add_f64_e64 v[238:239], v[166:167], -v[186:187]
	v_add_f64_e32 v[228:229], v[166:167], v[182:183]
	v_add_f64_e32 v[216:217], v[188:189], v[176:177]
	;; [unrolled: 1-line block ×3, first 2 shown]
	ds_load_b128 v[160:163], v200 offset:17280
	ds_load_b128 v[188:191], v200 offset:20160
	v_fma_f64 v[192:193], v[192:193], -0.5, v[156:157]
	v_fma_f64 v[194:195], v[194:195], -0.5, v[158:159]
	global_wb scope:SCOPE_SE
	s_wait_dscnt 0x0
	s_barrier_signal -1
	s_barrier_wait -1
	global_inv scope:SCOPE_SE
	v_fma_f64 v[230:231], v[230:231], -0.5, v[168:169]
	v_fma_f64 v[228:229], v[228:229], -0.5, v[170:171]
	v_add_f64_e32 v[220:221], v[176:177], v[160:161]
	v_add_f64_e64 v[226:227], v[176:177], -v[160:161]
	v_add_f64_e32 v[240:241], v[186:187], v[190:191]
	v_add_f64_e32 v[222:223], v[178:179], v[162:163]
	v_add_f64_e64 v[224:225], v[178:179], -v[162:163]
	v_add_f64_e32 v[242:243], v[184:185], v[188:189]
	v_add_f64_e64 v[246:247], v[182:183], -v[190:191]
	v_add_f64_e64 v[244:245], v[180:181], -v[188:189]
	v_add_f64_e32 v[176:177], v[216:217], v[160:161]
	v_add_f64_e32 v[178:179], v[218:219], v[162:163]
	v_add_f64_e64 v[216:217], v[172:173], -v[160:161]
	v_add_f64_e64 v[160:161], v[160:161], -v[172:173]
	;; [unrolled: 1-line block ×4, first 2 shown]
	v_fma_f64 v[220:221], v[220:221], -0.5, v[156:157]
	v_fma_f64 v[240:241], v[240:241], -0.5, v[170:171]
	;; [unrolled: 1-line block ×4, first 2 shown]
	v_add_f64_e32 v[238:239], v[238:239], v[246:247]
	v_add_f64_e32 v[236:237], v[236:237], v[244:245]
	;; [unrolled: 1-line block ×6, first 2 shown]
	v_add_f64_e64 v[164:165], v[184:185], -v[164:165]
	v_add_f64_e64 v[166:167], v[186:187], -v[166:167]
	v_add_f64_e32 v[208:209], v[208:209], v[216:217]
	v_add_f64_e32 v[212:213], v[212:213], v[218:219]
	s_wait_alu 0xfffe
	v_fma_f64 v[156:157], v[232:233], s[10:11], v[240:241]
	v_fma_f64 v[158:159], v[234:235], s[8:9], v[242:243]
	v_add_f64_e32 v[176:177], v[176:177], v[184:185]
	v_add_f64_e64 v[184:185], v[184:185], -v[188:189]
	v_add_f64_e32 v[178:179], v[178:179], v[186:187]
	v_add_f64_e64 v[186:187], v[186:187], -v[190:191]
	s_delay_alu instid0(VALU_DEP_4) | instskip(NEXT) | instid1(VALU_DEP_4)
	v_add_f64_e32 v[176:177], v[176:177], v[188:189]
	v_fma_f64 v[156:157], v[184:185], s[14:15], v[156:157]
	v_add_f64_e64 v[188:189], v[188:189], -v[180:181]
	s_delay_alu instid0(VALU_DEP_4)
	v_fma_f64 v[158:159], v[186:187], s[12:13], v[158:159]
	v_add_f64_e32 v[178:179], v[178:179], v[190:191]
	v_add_f64_e64 v[190:191], v[190:191], -v[182:183]
	v_add_f64_e32 v[176:177], v[176:177], v[180:181]
	v_fma_f64 v[156:157], v[238:239], s[16:17], v[156:157]
	v_add_f64_e32 v[164:165], v[164:165], v[188:189]
	v_fma_f64 v[158:159], v[236:237], s[16:17], v[158:159]
	;; [unrolled: 2-line block ×3, first 2 shown]
	v_add_f64_e32 v[166:167], v[166:167], v[190:191]
	v_add_f64_e32 v[190:191], v[214:215], v[162:163]
	v_fma_f64 v[162:163], v[186:187], s[10:11], v[230:231]
	v_add_f64_e32 v[178:179], v[178:179], v[182:183]
	v_add_f64_e32 v[168:169], v[172:173], v[176:177]
	v_add_f64_e64 v[172:173], v[172:173], -v[176:177]
	v_mul_f64_e32 v[176:177], s[12:13], v[156:157]
	v_fma_f64 v[160:161], v[232:233], s[14:15], v[160:161]
	v_fma_f64 v[162:163], v[234:235], s[12:13], v[162:163]
	v_add_f64_e32 v[170:171], v[174:175], v[178:179]
	v_add_f64_e64 v[174:175], v[174:175], -v[178:179]
	v_fma_f64 v[180:181], v[158:159], s[18:19], v[176:177]
	v_mul_f64_e32 v[158:159], s[14:15], v[158:159]
	v_fma_f64 v[176:177], v[206:207], s[10:11], v[222:223]
	v_fma_f64 v[160:161], v[166:167], s[16:17], v[160:161]
	;; [unrolled: 1-line block ×3, first 2 shown]
	s_delay_alu instid0(VALU_DEP_4) | instskip(SKIP_3) | instid1(VALU_DEP_2)
	v_fma_f64 v[158:159], v[156:157], s[18:19], v[158:159]
	v_fma_f64 v[156:157], v[197:198], s[8:9], v[220:221]
	;; [unrolled: 1-line block ×3, first 2 shown]
	s_mov_b32 s19, 0xbfe9e377
	v_fma_f64 v[156:157], v[224:225], s[12:13], v[156:157]
	s_delay_alu instid0(VALU_DEP_2) | instskip(NEXT) | instid1(VALU_DEP_2)
	v_fma_f64 v[182:183], v[212:213], s[16:17], v[176:177]
	v_fma_f64 v[156:157], v[208:209], s[16:17], v[156:157]
	s_delay_alu instid0(VALU_DEP_2) | instskip(SKIP_1) | instid1(VALU_DEP_3)
	v_add_f64_e32 v[178:179], v[182:183], v[158:159]
	v_add_f64_e64 v[158:159], v[182:183], -v[158:159]
	v_add_f64_e32 v[176:177], v[156:157], v[180:181]
	v_add_f64_e64 v[156:157], v[156:157], -v[180:181]
	v_mul_f64_e32 v[180:181], s[8:9], v[160:161]
	v_mul_f64_e32 v[160:161], s[16:17], v[160:161]
	s_delay_alu instid0(VALU_DEP_2) | instskip(NEXT) | instid1(VALU_DEP_2)
	v_fma_f64 v[210:211], v[162:163], s[16:17], v[180:181]
	v_fma_f64 v[162:163], v[162:163], s[10:11], v[160:161]
	;; [unrolled: 1-line block ×5, first 2 shown]
	s_delay_alu instid0(VALU_DEP_3) | instskip(NEXT) | instid1(VALU_DEP_3)
	v_fma_f64 v[160:161], v[197:198], s[12:13], v[160:161]
	v_fma_f64 v[180:181], v[206:207], s[14:15], v[180:181]
	s_delay_alu instid0(VALU_DEP_3) | instskip(SKIP_1) | instid1(VALU_DEP_4)
	v_fma_f64 v[192:193], v[197:198], s[14:15], v[192:193]
	v_fma_f64 v[197:198], v[197:198], s[10:11], v[220:221]
	v_fma_f64 v[160:161], v[188:189], s[16:17], v[160:161]
	s_delay_alu instid0(VALU_DEP_4) | instskip(NEXT) | instid1(VALU_DEP_4)
	v_fma_f64 v[214:215], v[190:191], s[16:17], v[180:181]
	v_fma_f64 v[192:193], v[188:189], s[16:17], v[192:193]
	;; [unrolled: 1-line block ×3, first 2 shown]
	s_delay_alu instid0(VALU_DEP_4) | instskip(SKIP_2) | instid1(VALU_DEP_4)
	v_add_f64_e32 v[180:181], v[160:161], v[210:211]
	v_add_f64_e64 v[160:161], v[160:161], -v[210:211]
	v_fma_f64 v[210:211], v[184:185], s[10:11], v[228:229]
	v_fma_f64 v[188:189], v[206:207], s[12:13], v[188:189]
	;; [unrolled: 1-line block ×3, first 2 shown]
	v_add_f64_e32 v[182:183], v[214:215], v[162:163]
	v_add_f64_e64 v[162:163], v[214:215], -v[162:163]
	v_fma_f64 v[210:211], v[232:233], s[12:13], v[210:211]
	v_fma_f64 v[194:195], v[190:191], s[16:17], v[188:189]
	s_delay_alu instid0(VALU_DEP_2) | instskip(SKIP_1) | instid1(VALU_DEP_2)
	v_fma_f64 v[166:167], v[166:167], s[16:17], v[210:211]
	v_fma_f64 v[210:211], v[186:187], s[8:9], v[230:231]
	v_mul_f64_e32 v[188:189], s[8:9], v[166:167]
	s_delay_alu instid0(VALU_DEP_2) | instskip(SKIP_1) | instid1(VALU_DEP_2)
	v_fma_f64 v[210:211], v[234:235], s[14:15], v[210:211]
	v_mul_f64_e32 v[166:167], s[20:21], v[166:167]
	v_fma_f64 v[164:165], v[164:165], s[16:17], v[210:211]
	s_delay_alu instid0(VALU_DEP_1) | instskip(NEXT) | instid1(VALU_DEP_3)
	v_fma_f64 v[210:211], v[164:165], s[20:21], v[188:189]
	v_fma_f64 v[166:167], v[164:165], s[10:11], v[166:167]
	s_delay_alu instid0(VALU_DEP_2) | instskip(SKIP_2) | instid1(VALU_DEP_4)
	v_add_f64_e32 v[188:189], v[192:193], v[210:211]
	v_add_f64_e64 v[164:165], v[192:193], -v[210:211]
	v_fma_f64 v[192:193], v[232:233], s[8:9], v[240:241]
	v_add_f64_e32 v[190:191], v[194:195], v[166:167]
	v_add_f64_e64 v[166:167], v[194:195], -v[166:167]
	v_fma_f64 v[194:195], v[234:235], s[10:11], v[242:243]
	s_delay_alu instid0(VALU_DEP_4) | instskip(SKIP_1) | instid1(VALU_DEP_3)
	v_fma_f64 v[184:185], v[184:185], s[12:13], v[192:193]
	v_fma_f64 v[192:193], v[224:225], s[14:15], v[197:198]
	;; [unrolled: 1-line block ×4, first 2 shown]
	s_delay_alu instid0(VALU_DEP_4) | instskip(NEXT) | instid1(VALU_DEP_4)
	v_fma_f64 v[184:185], v[238:239], s[16:17], v[184:185]
	v_fma_f64 v[197:198], v[208:209], s[16:17], v[192:193]
	s_delay_alu instid0(VALU_DEP_4) | instskip(NEXT) | instid1(VALU_DEP_4)
	v_fma_f64 v[186:187], v[236:237], s[16:17], v[186:187]
	v_fma_f64 v[206:207], v[212:213], s[16:17], v[194:195]
	s_delay_alu instid0(VALU_DEP_4) | instskip(SKIP_2) | instid1(VALU_DEP_2)
	v_mul_f64_e32 v[192:193], s[12:13], v[184:185]
	s_wait_alu 0xfffe
	v_mul_f64_e32 v[184:185], s[18:19], v[184:185]
	v_fma_f64 v[208:209], v[186:187], s[18:19], v[192:193]
	s_delay_alu instid0(VALU_DEP_2) | instskip(NEXT) | instid1(VALU_DEP_2)
	v_fma_f64 v[186:187], v[186:187], s[14:15], v[184:185]
	v_add_f64_e32 v[192:193], v[197:198], v[208:209]
	s_delay_alu instid0(VALU_DEP_2)
	v_add_f64_e32 v[194:195], v[206:207], v[186:187]
	v_add_f64_e64 v[184:185], v[197:198], -v[208:209]
	v_add_f64_e64 v[186:187], v[206:207], -v[186:187]
	ds_store_b128 v203, v[168:171]
	ds_store_b128 v203, v[176:179] offset:16
	ds_store_b128 v203, v[180:183] offset:32
	;; [unrolled: 1-line block ×9, first 2 shown]
	global_wb scope:SCOPE_SE
	s_wait_dscnt 0x0
	s_barrier_signal -1
	s_barrier_wait -1
	global_inv scope:SCOPE_SE
	ds_load_b128 v[168:171], v200
	ds_load_b128 v[172:175], v200 offset:4800
	ds_load_b128 v[176:179], v200 offset:9600
	;; [unrolled: 1-line block ×5, first 2 shown]
	s_and_saveexec_b32 s1, vcc_lo
	s_cbranch_execz .LBB0_11
; %bb.10:
	ds_load_b128 v[156:159], v200 offset:2880
	ds_load_b128 v[160:163], v200 offset:7680
	;; [unrolled: 1-line block ×6, first 2 shown]
.LBB0_11:
	s_wait_alu 0xfffe
	s_or_b32 exec_lo, exec_lo, s1
	s_wait_dscnt 0x2
	v_mul_f64_e32 v[197:198], v[70:71], v[188:189]
	s_wait_dscnt 0x0
	v_mul_f64_e32 v[206:207], v[74:75], v[192:193]
	v_mul_f64_e32 v[208:209], v[66:67], v[184:185]
	;; [unrolled: 1-line block ×7, first 2 shown]
	s_mov_b32 s8, 0xe8584caa
	s_mov_b32 s9, 0xbfebb67a
	;; [unrolled: 1-line block ×3, first 2 shown]
	s_wait_alu 0xfffe
	s_mov_b32 s10, s8
	global_wb scope:SCOPE_SE
	s_barrier_signal -1
	s_barrier_wait -1
	global_inv scope:SCOPE_SE
	v_fma_f64 v[190:191], v[68:69], v[190:191], -v[197:198]
	v_fma_f64 v[194:195], v[72:73], v[194:195], -v[206:207]
	v_mul_f64_e32 v[197:198], v[42:43], v[160:161]
	v_mul_f64_e32 v[206:207], v[66:67], v[186:187]
	v_fma_f64 v[70:71], v[64:65], v[186:187], -v[208:209]
	v_fma_f64 v[66:67], v[76:77], v[154:155], -v[210:211]
	v_mul_f64_e32 v[154:155], v[54:55], v[174:175]
	v_mul_f64_e32 v[186:187], v[62:63], v[178:179]
	;; [unrolled: 1-line block ×6, first 2 shown]
	v_fma_f64 v[68:69], v[68:69], v[188:189], v[214:215]
	v_fma_f64 v[72:73], v[72:73], v[192:193], v[74:75]
	v_fma_f64 v[74:75], v[52:53], v[174:175], -v[212:213]
	v_mul_f64_e32 v[188:189], v[50:51], v[166:167]
	v_mul_f64_e32 v[192:193], v[50:51], v[164:165]
	;; [unrolled: 1-line block ×4, first 2 shown]
	v_fma_f64 v[50:51], v[76:77], v[152:153], v[78:79]
	v_add_f64_e32 v[174:175], v[190:191], v[194:195]
	v_fma_f64 v[58:59], v[40:41], v[162:163], -v[197:198]
	v_fma_f64 v[54:55], v[64:65], v[184:185], v[206:207]
	v_add_f64_e32 v[64:65], v[70:71], v[66:67]
	v_fma_f64 v[154:155], v[52:53], v[172:173], v[154:155]
	v_fma_f64 v[76:77], v[60:61], v[176:177], v[186:187]
	v_fma_f64 v[78:79], v[60:61], v[178:179], -v[62:63]
	v_fma_f64 v[152:153], v[56:57], v[180:181], v[208:209]
	v_fma_f64 v[162:163], v[56:57], v[182:183], -v[210:211]
	v_fma_f64 v[60:61], v[40:41], v[160:161], v[42:43]
	v_add_f64_e32 v[172:173], v[68:69], v[72:73]
	v_add_f64_e64 v[176:177], v[68:69], -v[72:73]
	v_fma_f64 v[52:53], v[48:49], v[164:165], v[188:189]
	v_fma_f64 v[62:63], v[48:49], v[166:167], -v[192:193]
	v_fma_f64 v[48:49], v[44:45], v[148:149], v[212:213]
	v_fma_f64 v[56:57], v[44:45], v[150:151], -v[46:47]
	v_add_f64_e64 v[148:149], v[190:191], -v[194:195]
	v_fma_f64 v[174:175], v[174:175], -0.5, v[74:75]
	v_add_f64_e32 v[74:75], v[74:75], v[190:191]
	v_add_f64_e32 v[40:41], v[54:55], v[50:51]
	v_add_f64_e64 v[42:43], v[54:55], -v[50:51]
	v_fma_f64 v[44:45], v[64:65], -0.5, v[58:59]
	v_add_f64_e32 v[68:69], v[154:155], v[68:69]
	v_add_f64_e32 v[46:47], v[76:77], v[152:153]
	;; [unrolled: 1-line block ×3, first 2 shown]
	v_add_f64_e64 v[178:179], v[78:79], -v[162:163]
	v_add_f64_e32 v[78:79], v[170:171], v[78:79]
	v_fma_f64 v[150:151], v[172:173], -0.5, v[154:155]
	v_add_f64_e32 v[166:167], v[52:53], v[48:49]
	v_add_f64_e32 v[172:173], v[62:63], v[56:57]
	v_add_f64_e64 v[154:155], v[62:63], -v[56:57]
	v_add_f64_e64 v[180:181], v[52:53], -v[48:49]
	s_wait_alu 0xfffe
	v_fma_f64 v[160:161], v[176:177], s[10:11], v[174:175]
	v_fma_f64 v[164:165], v[176:177], s[8:9], v[174:175]
	v_add_f64_e64 v[174:175], v[70:71], -v[66:67]
	v_fma_f64 v[40:41], v[40:41], -0.5, v[60:61]
	v_fma_f64 v[176:177], v[42:43], s[10:11], v[44:45]
	v_fma_f64 v[42:43], v[42:43], s[8:9], v[44:45]
	v_add_f64_e32 v[44:45], v[168:169], v[76:77]
	v_add_f64_e64 v[76:77], v[76:77], -v[152:153]
	v_fma_f64 v[46:47], v[46:47], -0.5, v[168:169]
	v_fma_f64 v[64:65], v[64:65], -0.5, v[170:171]
	v_add_f64_e32 v[186:187], v[68:69], v[72:73]
	v_add_f64_e32 v[162:163], v[78:79], v[162:163]
	v_fma_f64 v[168:169], v[148:149], s[8:9], v[150:151]
	v_fma_f64 v[148:149], v[148:149], s[10:11], v[150:151]
	v_add_f64_e32 v[188:189], v[74:75], v[194:195]
	v_fma_f64 v[166:167], v[166:167], -0.5, v[156:157]
	v_fma_f64 v[172:173], v[172:173], -0.5, v[158:159]
	v_mul_f64_e32 v[150:151], s[8:9], v[160:161]
	v_mul_f64_e32 v[170:171], s[8:9], v[164:165]
	v_mul_f64_e32 v[164:165], -0.5, v[164:165]
	v_fma_f64 v[182:183], v[174:175], s[8:9], v[40:41]
	v_fma_f64 v[40:41], v[174:175], s[10:11], v[40:41]
	v_mul_f64_e32 v[174:175], s[8:9], v[176:177]
	v_mul_f64_e32 v[184:185], s[8:9], v[42:43]
	v_mul_f64_e32 v[176:177], 0.5, v[176:177]
	v_mul_f64_e32 v[42:43], -0.5, v[42:43]
	v_mul_f64_e32 v[160:161], 0.5, v[160:161]
	v_add_f64_e32 v[44:45], v[44:45], v[152:153]
	v_fma_f64 v[190:191], v[178:179], s[8:9], v[46:47]
	v_fma_f64 v[46:47], v[178:179], s[10:11], v[46:47]
	;; [unrolled: 1-line block ×8, first 2 shown]
	v_add_f64_e32 v[154:155], v[162:163], v[188:189]
	v_add_f64_e64 v[162:163], v[162:163], -v[188:189]
	v_fma_f64 v[194:195], v[168:169], 0.5, v[150:151]
	v_fma_f64 v[197:198], v[148:149], -0.5, v[170:171]
	v_fma_f64 v[208:209], v[148:149], s[10:11], v[164:165]
	v_fma_f64 v[68:69], v[182:183], 0.5, v[174:175]
	v_fma_f64 v[74:75], v[40:41], -0.5, v[184:185]
	v_fma_f64 v[148:149], v[182:183], s[10:11], v[176:177]
	v_fma_f64 v[150:151], v[40:41], s[10:11], v[42:43]
	;; [unrolled: 1-line block ×3, first 2 shown]
	v_add_f64_e32 v[152:153], v[44:45], v[186:187]
	v_add_f64_e64 v[160:161], v[44:45], -v[186:187]
	v_add_f64_e32 v[164:165], v[190:191], v[194:195]
	v_add_f64_e32 v[168:169], v[46:47], v[197:198]
	v_add_f64_e64 v[176:177], v[46:47], -v[197:198]
	v_add_f64_e32 v[170:171], v[192:193], v[208:209]
	v_add_f64_e64 v[172:173], v[190:191], -v[194:195]
	v_add_f64_e64 v[40:41], v[64:65], -v[68:69]
	;; [unrolled: 1-line block ×5, first 2 shown]
	v_add_f64_e32 v[166:167], v[178:179], v[206:207]
	v_add_f64_e64 v[174:175], v[178:179], -v[206:207]
	v_add_f64_e64 v[178:179], v[192:193], -v[208:209]
	ds_store_b128 v204, v[152:155]
	ds_store_b128 v204, v[164:167] offset:160
	ds_store_b128 v204, v[168:171] offset:320
	;; [unrolled: 1-line block ×5, first 2 shown]
	s_and_saveexec_b32 s1, vcc_lo
	s_cbranch_execz .LBB0_13
; %bb.12:
	v_add_f64_e32 v[62:63], v[158:159], v[62:63]
	v_add_f64_e32 v[58:59], v[58:59], v[70:71]
	;; [unrolled: 1-line block ×4, first 2 shown]
	s_delay_alu instid0(VALU_DEP_4) | instskip(NEXT) | instid1(VALU_DEP_4)
	v_add_f64_e32 v[60:61], v[62:63], v[56:57]
	v_add_f64_e32 v[62:63], v[58:59], v[66:67]
	s_delay_alu instid0(VALU_DEP_4) | instskip(NEXT) | instid1(VALU_DEP_4)
	v_add_f64_e32 v[66:67], v[52:53], v[48:49]
	v_add_f64_e32 v[70:71], v[54:55], v[50:51]
	;; [unrolled: 1-line block ×6, first 2 shown]
	v_mad_u16 v64, v201, 60, v202
	s_delay_alu instid0(VALU_DEP_1) | instskip(NEXT) | instid1(VALU_DEP_1)
	v_and_b32_e32 v64, 0xffff, v64
	v_lshlrev_b32_e32 v64, 4, v64
	v_add_f64_e32 v[58:59], v[60:61], v[62:63]
	v_add_f64_e64 v[62:63], v[60:61], -v[62:63]
	v_add_f64_e32 v[56:57], v[66:67], v[70:71]
	v_add_f64_e64 v[60:61], v[66:67], -v[70:71]
	ds_store_b128 v64, v[56:59]
	ds_store_b128 v64, v[52:55] offset:160
	ds_store_b128 v64, v[48:51] offset:320
	;; [unrolled: 1-line block ×5, first 2 shown]
.LBB0_13:
	s_wait_alu 0xfffe
	s_or_b32 exec_lo, exec_lo, s1
	global_wb scope:SCOPE_SE
	s_wait_dscnt 0x0
	s_barrier_signal -1
	s_barrier_wait -1
	global_inv scope:SCOPE_SE
	ds_load_b128 v[48:51], v200 offset:8640
	ds_load_b128 v[52:55], v200 offset:14400
	;; [unrolled: 1-line block ×6, first 2 shown]
	s_mov_b32 s12, 0x134454ff
	s_mov_b32 s13, 0xbfee6f0e
	;; [unrolled: 1-line block ×3, first 2 shown]
	s_wait_alu 0xfffe
	s_mov_b32 s8, s12
	s_mov_b32 s16, 0x4755a5e
	;; [unrolled: 1-line block ×4, first 2 shown]
	s_wait_alu 0xfffe
	s_mov_b32 s10, s16
	s_mov_b32 s14, 0x372fe950
	;; [unrolled: 1-line block ×5, first 2 shown]
	s_wait_alu 0xfffe
	s_mov_b32 s20, s14
	s_mov_b32 s23, 0xbfe9e377
	;; [unrolled: 1-line block ×3, first 2 shown]
	s_wait_dscnt 0x5
	v_mul_f64_e32 v[72:73], v[102:103], v[48:49]
	s_wait_dscnt 0x4
	v_mul_f64_e32 v[74:75], v[118:119], v[52:53]
	;; [unrolled: 2-line block ×5, first 2 shown]
	v_mul_f64_e32 v[102:103], v[102:103], v[50:51]
	v_mul_f64_e32 v[118:119], v[118:119], v[54:55]
	;; [unrolled: 1-line block ×5, first 2 shown]
	v_fma_f64 v[154:155], v[100:101], v[50:51], -v[72:73]
	v_fma_f64 v[54:55], v[116:117], v[54:55], -v[74:75]
	;; [unrolled: 1-line block ×4, first 2 shown]
	ds_load_b128 v[72:75], v200 offset:11520
	ds_load_b128 v[76:79], v200 offset:17280
	;; [unrolled: 1-line block ×3, first 2 shown]
	s_wait_dscnt 0x3
	v_mul_f64_e32 v[50:51], v[98:99], v[70:71]
	v_mul_f64_e32 v[98:99], v[98:99], v[68:69]
	v_fma_f64 v[100:101], v[100:101], v[48:49], v[102:103]
	v_fma_f64 v[52:53], v[116:117], v[52:53], v[118:119]
	;; [unrolled: 1-line block ×4, first 2 shown]
	v_fma_f64 v[66:67], v[80:81], v[66:67], -v[152:153]
	v_fma_f64 v[64:65], v[80:81], v[64:65], v[82:83]
	s_wait_dscnt 0x2
	v_mul_f64_e32 v[156:157], v[94:95], v[74:75]
	v_mul_f64_e32 v[94:95], v[94:95], v[72:73]
	s_wait_dscnt 0x1
	v_mul_f64_e32 v[158:159], v[90:91], v[78:79]
	s_wait_dscnt 0x0
	v_mul_f64_e32 v[160:161], v[86:87], v[150:151]
	v_mul_f64_e32 v[90:91], v[90:91], v[76:77]
	;; [unrolled: 1-line block ×3, first 2 shown]
	v_add_f64_e64 v[116:117], v[154:155], -v[54:55]
	v_add_f64_e32 v[48:49], v[54:55], v[58:59]
	v_add_f64_e32 v[102:103], v[154:155], v[62:63]
	v_add_f64_e64 v[114:115], v[154:155], -v[62:63]
	v_fma_f64 v[68:69], v[96:97], v[68:69], v[50:51]
	v_fma_f64 v[70:71], v[96:97], v[70:71], -v[98:99]
	v_add_f64_e64 v[118:119], v[62:63], -v[58:59]
	v_add_f64_e64 v[120:121], v[54:55], -v[154:155]
	v_add_f64_e32 v[80:81], v[52:53], v[56:57]
	v_add_f64_e32 v[82:83], v[100:101], v[60:61]
	v_add_f64_e64 v[122:123], v[58:59], -v[62:63]
	v_add_f64_e64 v[164:165], v[100:101], -v[52:53]
	;; [unrolled: 1-line block ×4, first 2 shown]
	v_fma_f64 v[72:73], v[92:93], v[72:73], v[156:157]
	v_fma_f64 v[74:75], v[92:93], v[74:75], -v[94:95]
	v_fma_f64 v[76:77], v[88:89], v[76:77], v[158:159]
	v_fma_f64 v[92:93], v[84:85], v[148:149], v[160:161]
	v_fma_f64 v[78:79], v[88:89], v[78:79], -v[90:91]
	v_fma_f64 v[84:85], v[84:85], v[150:151], -v[86:87]
	v_add_f64_e64 v[86:87], v[100:101], -v[60:61]
	v_add_f64_e64 v[88:89], v[52:53], -v[56:57]
	;; [unrolled: 1-line block ×3, first 2 shown]
	v_fma_f64 v[90:91], v[48:49], -0.5, v[66:67]
	v_fma_f64 v[94:95], v[102:103], -0.5, v[66:67]
	ds_load_b128 v[48:51], v200
	v_add_f64_e32 v[66:67], v[66:67], v[154:155]
	global_wb scope:SCOPE_SE
	s_wait_dscnt 0x0
	s_barrier_signal -1
	s_barrier_wait -1
	v_fma_f64 v[80:81], v[80:81], -0.5, v[64:65]
	v_fma_f64 v[82:83], v[82:83], -0.5, v[64:65]
	v_add_f64_e32 v[64:65], v[64:65], v[100:101]
	v_add_f64_e64 v[100:101], v[52:53], -v[100:101]
	global_inv scope:SCOPE_SE
	v_add_f64_e64 v[170:171], v[70:71], -v[74:75]
	v_add_f64_e32 v[96:97], v[72:73], v[76:77]
	v_add_f64_e32 v[98:99], v[68:69], v[92:93]
	;; [unrolled: 1-line block ×6, first 2 shown]
	v_add_f64_e64 v[158:159], v[70:71], -v[84:85]
	v_add_f64_e64 v[154:155], v[68:69], -v[92:93]
	;; [unrolled: 1-line block ×6, first 2 shown]
	v_fma_f64 v[150:151], v[86:87], s[8:9], v[90:91]
	v_fma_f64 v[152:153], v[88:89], s[12:13], v[94:95]
	;; [unrolled: 1-line block ×4, first 2 shown]
	v_add_f64_e32 v[54:55], v[66:67], v[54:55]
	v_add_f64_e32 v[52:53], v[64:65], v[52:53]
	;; [unrolled: 1-line block ×4, first 2 shown]
	v_fma_f64 v[96:97], v[96:97], -0.5, v[48:49]
	v_fma_f64 v[48:49], v[98:99], -0.5, v[48:49]
	;; [unrolled: 1-line block ×4, first 2 shown]
	v_add_f64_e32 v[112:113], v[116:117], v[118:119]
	v_add_f64_e32 v[116:117], v[120:121], v[122:123]
	v_fma_f64 v[118:119], v[114:115], s[12:13], v[80:81]
	v_fma_f64 v[80:81], v[114:115], s[8:9], v[80:81]
	;; [unrolled: 1-line block ×4, first 2 shown]
	v_add_f64_e64 v[98:99], v[72:73], -v[76:77]
	v_add_f64_e32 v[74:75], v[162:163], v[74:75]
	v_add_f64_e32 v[70:71], v[70:71], v[174:175]
	v_fma_f64 v[122:123], v[88:89], s[10:11], v[150:151]
	v_fma_f64 v[150:151], v[86:87], s[10:11], v[152:153]
	;; [unrolled: 1-line block ×4, first 2 shown]
	v_add_f64_e64 v[90:91], v[68:69], -v[72:73]
	v_add_f64_e64 v[68:69], v[72:73], -v[68:69]
	v_add_f64_e32 v[72:73], v[156:157], v[72:73]
	v_add_f64_e64 v[94:95], v[92:93], -v[76:77]
	v_add_f64_e64 v[152:153], v[76:77], -v[92:93]
	v_add_f64_e32 v[52:53], v[52:53], v[56:57]
	v_add_f64_e32 v[54:55], v[54:55], v[58:59]
	v_fma_f64 v[66:67], v[158:159], s[12:13], v[96:97]
	v_fma_f64 v[96:97], v[158:159], s[8:9], v[96:97]
	;; [unrolled: 1-line block ×12, first 2 shown]
	v_add_f64_e32 v[74:75], v[74:75], v[78:79]
	v_fma_f64 v[114:115], v[112:113], s[14:15], v[122:123]
	v_fma_f64 v[122:123], v[116:117], s[14:15], v[150:151]
	;; [unrolled: 1-line block ×4, first 2 shown]
	v_add_f64_e32 v[72:73], v[72:73], v[76:77]
	v_add_f64_e32 v[90:91], v[90:91], v[94:95]
	;; [unrolled: 1-line block ×6, first 2 shown]
	v_fma_f64 v[56:57], v[160:161], s[16:17], v[66:67]
	v_fma_f64 v[58:59], v[160:161], s[10:11], v[96:97]
	;; [unrolled: 1-line block ×12, first 2 shown]
	v_add_f64_e32 v[74:75], v[74:75], v[84:85]
	v_mul_f64_e32 v[100:101], s[16:17], v[114:115]
	v_mul_f64_e32 v[114:115], s[18:19], v[114:115]
	;; [unrolled: 1-line block ×5, first 2 shown]
	s_wait_alu 0xfffe
	v_mul_f64_e32 v[86:87], s[20:21], v[86:87]
	v_mul_f64_e32 v[116:117], s[16:17], v[88:89]
	;; [unrolled: 1-line block ×3, first 2 shown]
	v_add_f64_e32 v[72:73], v[72:73], v[92:93]
	v_fma_f64 v[84:85], v[90:91], s[14:15], v[56:57]
	v_fma_f64 v[90:91], v[90:91], s[14:15], v[58:59]
	v_fma_f64 v[120:121], v[94:95], s[14:15], v[76:77]
	v_fma_f64 v[94:95], v[94:95], s[14:15], v[78:79]
	v_fma_f64 v[92:93], v[68:69], s[14:15], v[66:67]
	v_fma_f64 v[48:49], v[68:69], s[14:15], v[48:49]
	v_fma_f64 v[96:97], v[70:71], s[14:15], v[96:97]
	v_fma_f64 v[50:51], v[70:71], s[14:15], v[50:51]
	v_add_f64_e32 v[54:55], v[74:75], v[62:63]
	v_add_f64_e64 v[58:59], v[74:75], -v[62:63]
	v_fma_f64 v[76:77], v[98:99], s[18:19], v[100:101]
	v_fma_f64 v[98:99], v[98:99], s[10:11], v[114:115]
	;; [unrolled: 1-line block ×8, first 2 shown]
	v_add_f64_e32 v[52:53], v[72:73], v[60:61]
	v_add_f64_e64 v[56:57], v[72:73], -v[60:61]
	v_add_f64_e32 v[60:61], v[84:85], v[76:77]
	v_add_f64_e32 v[62:63], v[120:121], v[98:99]
	;; [unrolled: 1-line block ×8, first 2 shown]
	v_add_f64_e64 v[76:77], v[84:85], -v[76:77]
	v_add_f64_e64 v[80:81], v[92:93], -v[78:79]
	;; [unrolled: 1-line block ×8, first 2 shown]
	ds_store_b128 v205, v[52:55]
	ds_store_b128 v205, v[60:63] offset:960
	ds_store_b128 v205, v[64:67] offset:1920
	;; [unrolled: 1-line block ×9, first 2 shown]
	global_wb scope:SCOPE_SE
	s_wait_dscnt 0x0
	s_barrier_signal -1
	s_barrier_wait -1
	global_inv scope:SCOPE_SE
	ds_load_b128 v[60:63], v200
	ds_load_b128 v[52:55], v200 offset:2880
	ds_load_b128 v[76:79], v200 offset:19200
	;; [unrolled: 1-line block ×8, first 2 shown]
	s_and_saveexec_b32 s1, s0
	s_cbranch_execz .LBB0_15
; %bb.14:
	ds_load_b128 v[48:51], v200 offset:8640
	ds_load_b128 v[40:43], v200 offset:18240
	;; [unrolled: 1-line block ×3, first 2 shown]
.LBB0_15:
	s_wait_alu 0xfffe
	s_or_b32 exec_lo, exec_lo, s1
	s_wait_dscnt 0x4
	v_mul_f64_e32 v[88:89], v[146:147], v[86:87]
	v_mul_f64_e32 v[90:91], v[130:131], v[78:79]
	;; [unrolled: 1-line block ×4, first 2 shown]
	s_wait_dscnt 0x2
	v_mul_f64_e32 v[96:97], v[134:135], v[82:83]
	v_mul_f64_e32 v[98:99], v[126:127], v[66:67]
	;; [unrolled: 1-line block ×4, first 2 shown]
	s_wait_dscnt 0x1
	v_mul_f64_e32 v[112:113], v[142:143], v[70:71]
	s_wait_dscnt 0x0
	v_mul_f64_e32 v[114:115], v[138:139], v[74:75]
	v_mul_f64_e32 v[116:117], v[142:143], v[68:69]
	;; [unrolled: 1-line block ×3, first 2 shown]
	s_mov_b32 s8, 0xe8584caa
	s_mov_b32 s9, 0xbfebb67a
	;; [unrolled: 1-line block ×3, first 2 shown]
	s_wait_alu 0xfffe
	s_mov_b32 s10, s8
	v_fma_f64 v[84:85], v[144:145], v[84:85], v[88:89]
	v_fma_f64 v[76:77], v[128:129], v[76:77], v[90:91]
	v_fma_f64 v[86:87], v[144:145], v[86:87], -v[92:93]
	v_fma_f64 v[78:79], v[128:129], v[78:79], -v[94:95]
	v_fma_f64 v[80:81], v[132:133], v[80:81], v[96:97]
	v_fma_f64 v[64:65], v[124:125], v[64:65], v[98:99]
	v_fma_f64 v[82:83], v[132:133], v[82:83], -v[100:101]
	v_fma_f64 v[66:67], v[124:125], v[66:67], -v[102:103]
	;; [unrolled: 4-line block ×3, first 2 shown]
	v_add_f64_e32 v[100:101], v[60:61], v[84:85]
	v_add_f64_e32 v[88:89], v[84:85], v[76:77]
	v_add_f64_e64 v[84:85], v[84:85], -v[76:77]
	v_add_f64_e32 v[90:91], v[86:87], v[78:79]
	v_add_f64_e64 v[102:103], v[86:87], -v[78:79]
	v_add_f64_e32 v[92:93], v[80:81], v[64:65]
	v_add_f64_e32 v[86:87], v[62:63], v[86:87]
	;; [unrolled: 1-line block ×7, first 2 shown]
	v_add_f64_e64 v[82:83], v[82:83], -v[66:67]
	v_add_f64_e64 v[80:81], v[80:81], -v[64:65]
	v_add_f64_e32 v[116:117], v[56:57], v[68:69]
	v_add_f64_e32 v[118:119], v[58:59], v[70:71]
	v_add_f64_e64 v[120:121], v[70:71], -v[74:75]
	v_add_f64_e64 v[122:123], v[68:69], -v[72:73]
	v_fma_f64 v[88:89], v[88:89], -0.5, v[60:61]
	v_fma_f64 v[90:91], v[90:91], -0.5, v[62:63]
	v_fma_f64 v[92:93], v[92:93], -0.5, v[52:53]
	v_add_f64_e32 v[52:53], v[100:101], v[76:77]
	v_fma_f64 v[94:95], v[94:95], -0.5, v[54:55]
	v_add_f64_e32 v[54:55], v[86:87], v[78:79]
	v_fma_f64 v[96:97], v[96:97], -0.5, v[56:57]
	;; [unrolled: 2-line block ×3, first 2 shown]
	v_add_f64_e32 v[58:59], v[114:115], v[66:67]
	v_add_f64_e32 v[60:61], v[116:117], v[72:73]
	;; [unrolled: 1-line block ×3, first 2 shown]
	s_wait_alu 0xfffe
	v_fma_f64 v[68:69], v[102:103], s[10:11], v[88:89]
	v_fma_f64 v[64:65], v[102:103], s[8:9], v[88:89]
	;; [unrolled: 1-line block ×12, first 2 shown]
	ds_store_b128 v200, v[52:55]
	ds_store_b128 v200, v[56:59] offset:2880
	ds_store_b128 v200, v[68:71] offset:19200
	;; [unrolled: 1-line block ×8, first 2 shown]
	s_and_saveexec_b32 s1, s0
	s_cbranch_execz .LBB0_17
; %bb.16:
	v_mul_f64_e32 v[52:53], v[110:111], v[40:41]
	v_mul_f64_e32 v[54:55], v[106:107], v[44:45]
	;; [unrolled: 1-line block ×4, first 2 shown]
	s_delay_alu instid0(VALU_DEP_4) | instskip(NEXT) | instid1(VALU_DEP_4)
	v_fma_f64 v[42:43], v[108:109], v[42:43], -v[52:53]
	v_fma_f64 v[46:47], v[104:105], v[46:47], -v[54:55]
	s_delay_alu instid0(VALU_DEP_4) | instskip(NEXT) | instid1(VALU_DEP_4)
	v_fma_f64 v[40:41], v[108:109], v[40:41], v[56:57]
	v_fma_f64 v[44:45], v[104:105], v[44:45], v[58:59]
	s_delay_alu instid0(VALU_DEP_4) | instskip(NEXT) | instid1(VALU_DEP_4)
	v_add_f64_e32 v[58:59], v[50:51], v[42:43]
	v_add_f64_e32 v[52:53], v[42:43], v[46:47]
	s_delay_alu instid0(VALU_DEP_3) | instskip(SKIP_2) | instid1(VALU_DEP_4)
	v_add_f64_e32 v[54:55], v[40:41], v[44:45]
	v_add_f64_e64 v[56:57], v[40:41], -v[44:45]
	v_add_f64_e32 v[40:41], v[48:49], v[40:41]
	v_fma_f64 v[50:51], v[52:53], -0.5, v[50:51]
	v_add_f64_e64 v[52:53], v[42:43], -v[46:47]
	v_fma_f64 v[54:55], v[54:55], -0.5, v[48:49]
	v_add_f64_e32 v[42:43], v[58:59], v[46:47]
	v_add_f64_e32 v[40:41], v[40:41], v[44:45]
	v_fma_f64 v[46:47], v[56:57], s[8:9], v[50:51]
	v_fma_f64 v[50:51], v[56:57], s[10:11], v[50:51]
	;; [unrolled: 1-line block ×4, first 2 shown]
	ds_store_b128 v200, v[40:43] offset:8640
	ds_store_b128 v200, v[48:51] offset:18240
	;; [unrolled: 1-line block ×3, first 2 shown]
.LBB0_17:
	s_wait_alu 0xfffe
	s_or_b32 exec_lo, exec_lo, s1
	global_wb scope:SCOPE_SE
	s_wait_dscnt 0x0
	s_barrier_signal -1
	s_barrier_wait -1
	global_inv scope:SCOPE_SE
	ds_load_b128 v[40:43], v200
	ds_load_b128 v[44:47], v200 offset:2880
	ds_load_b128 v[48:51], v200 offset:5760
	;; [unrolled: 1-line block ×9, first 2 shown]
	v_mad_co_u64_u32 v[80:81], null, s6, v196, 0
	v_mad_co_u64_u32 v[82:83], null, s4, v199, 0
	s_mul_u64 s[0:1], s[4:5], 0xb40
	s_delay_alu instid0(VALU_DEP_1)
	v_mad_co_u64_u32 v[92:93], null, s7, v196, v[81:82]
	s_wait_dscnt 0x9
	v_mul_f64_e32 v[84:85], v[2:3], v[42:43]
	v_mul_f64_e32 v[2:3], v[2:3], v[40:41]
	s_wait_dscnt 0x8
	v_mul_f64_e32 v[86:87], v[6:7], v[46:47]
	v_mul_f64_e32 v[6:7], v[6:7], v[44:45]
	s_wait_dscnt 0x7
	v_mul_f64_e32 v[88:89], v[10:11], v[50:51]
	v_mul_f64_e32 v[10:11], v[10:11], v[48:49]
	s_wait_dscnt 0x6
	v_mul_f64_e32 v[90:91], v[14:15], v[54:55]
	v_mul_f64_e32 v[14:15], v[14:15], v[52:53]
	s_wait_dscnt 0x4
	v_mul_f64_e32 v[95:96], v[22:23], v[62:63]
	v_mul_f64_e32 v[22:23], v[22:23], v[60:61]
	v_mul_f64_e32 v[93:94], v[18:19], v[58:59]
	v_mul_f64_e32 v[18:19], v[18:19], v[56:57]
	s_wait_dscnt 0x3
	v_mul_f64_e32 v[97:98], v[26:27], v[66:67]
	v_mul_f64_e32 v[26:27], v[26:27], v[64:65]
	s_wait_dscnt 0x2
	;; [unrolled: 3-line block ×4, first 2 shown]
	v_mul_f64_e32 v[103:104], v[38:39], v[78:79]
	v_mul_f64_e32 v[38:39], v[38:39], v[76:77]
	v_mov_b32_e32 v81, v92
	s_delay_alu instid0(VALU_DEP_1)
	v_lshlrev_b64_e32 v[80:81], 4, v[80:81]
	v_fma_f64 v[40:41], v[0:1], v[40:41], v[84:85]
	v_fma_f64 v[2:3], v[0:1], v[42:43], -v[2:3]
	v_fma_f64 v[42:43], v[4:5], v[44:45], v[86:87]
	v_fma_f64 v[6:7], v[4:5], v[46:47], -v[6:7]
	;; [unrolled: 2-line block ×10, first 2 shown]
	v_mad_co_u64_u32 v[105:106], null, s5, v199, v[83:84]
	v_add_co_u32 v0, vcc_lo, s2, v80
	s_wait_alu 0xfffd
	v_add_co_ci_u32_e32 v1, vcc_lo, s3, v81, vcc_lo
	s_mov_b32 s2, 0x789abcdf
	s_mov_b32 s3, 0x3f423456
	s_delay_alu instid0(VALU_DEP_3) | instskip(NEXT) | instid1(VALU_DEP_1)
	v_mov_b32_e32 v83, v105
	v_lshlrev_b64_e32 v[82:83], 4, v[82:83]
	s_delay_alu instid0(VALU_DEP_1) | instskip(SKIP_1) | instid1(VALU_DEP_2)
	v_add_co_u32 v60, vcc_lo, v0, v82
	s_wait_alu 0xfffd
	v_add_co_ci_u32_e32 v61, vcc_lo, v1, v83, vcc_lo
	s_wait_alu 0xfffe
	v_mul_f64_e32 v[0:1], s[2:3], v[40:41]
	v_add_co_u32 v62, vcc_lo, v60, s0
	s_wait_alu 0xfffd
	v_add_co_ci_u32_e32 v63, vcc_lo, s1, v61, vcc_lo
	v_mul_f64_e32 v[2:3], s[2:3], v[2:3]
	v_mul_f64_e32 v[4:5], s[2:3], v[42:43]
	;; [unrolled: 1-line block ×5, first 2 shown]
	v_add_co_u32 v64, vcc_lo, v62, s0
	v_mul_f64_e32 v[12:13], s[2:3], v[46:47]
	v_mul_f64_e32 v[14:15], s[2:3], v[14:15]
	;; [unrolled: 1-line block ×8, first 2 shown]
	s_wait_alu 0xfffd
	v_add_co_ci_u32_e32 v65, vcc_lo, s1, v63, vcc_lo
	v_mul_f64_e32 v[28:29], s[2:3], v[54:55]
	v_mul_f64_e32 v[30:31], s[2:3], v[30:31]
	;; [unrolled: 1-line block ×6, first 2 shown]
	v_add_co_u32 v40, vcc_lo, v64, s0
	s_wait_alu 0xfffd
	v_add_co_ci_u32_e32 v41, vcc_lo, s1, v65, vcc_lo
	s_delay_alu instid0(VALU_DEP_2) | instskip(SKIP_1) | instid1(VALU_DEP_2)
	v_add_co_u32 v42, vcc_lo, v40, s0
	s_wait_alu 0xfffd
	v_add_co_ci_u32_e32 v43, vcc_lo, s1, v41, vcc_lo
	s_clause 0x4
	global_store_b128 v[60:61], v[0:3], off
	global_store_b128 v[62:63], v[4:7], off
	;; [unrolled: 1-line block ×5, first 2 shown]
	v_add_co_u32 v44, vcc_lo, v42, s0
	s_wait_alu 0xfffd
	v_add_co_ci_u32_e32 v45, vcc_lo, s1, v43, vcc_lo
	s_delay_alu instid0(VALU_DEP_2) | instskip(SKIP_1) | instid1(VALU_DEP_2)
	v_add_co_u32 v46, vcc_lo, v44, s0
	s_wait_alu 0xfffd
	v_add_co_ci_u32_e32 v47, vcc_lo, s1, v45, vcc_lo
	s_delay_alu instid0(VALU_DEP_2) | instskip(SKIP_1) | instid1(VALU_DEP_2)
	;; [unrolled: 4-line block ×4, first 2 shown]
	v_add_co_u32 v0, vcc_lo, v50, s0
	s_wait_alu 0xfffd
	v_add_co_ci_u32_e32 v1, vcc_lo, s1, v51, vcc_lo
	global_store_b128 v[44:45], v[20:23], off
	global_store_b128 v[46:47], v[24:27], off
	;; [unrolled: 1-line block ×5, first 2 shown]
.LBB0_18:
	s_nop 0
	s_sendmsg sendmsg(MSG_DEALLOC_VGPRS)
	s_endpgm
	.section	.rodata,"a",@progbits
	.p2align	6, 0x0
	.amdhsa_kernel bluestein_single_back_len1800_dim1_dp_op_CI_CI
		.amdhsa_group_segment_fixed_size 28800
		.amdhsa_private_segment_fixed_size 0
		.amdhsa_kernarg_size 104
		.amdhsa_user_sgpr_count 2
		.amdhsa_user_sgpr_dispatch_ptr 0
		.amdhsa_user_sgpr_queue_ptr 0
		.amdhsa_user_sgpr_kernarg_segment_ptr 1
		.amdhsa_user_sgpr_dispatch_id 0
		.amdhsa_user_sgpr_private_segment_size 0
		.amdhsa_wavefront_size32 1
		.amdhsa_uses_dynamic_stack 0
		.amdhsa_enable_private_segment 0
		.amdhsa_system_sgpr_workgroup_id_x 1
		.amdhsa_system_sgpr_workgroup_id_y 0
		.amdhsa_system_sgpr_workgroup_id_z 0
		.amdhsa_system_sgpr_workgroup_info 0
		.amdhsa_system_vgpr_workitem_id 0
		.amdhsa_next_free_vgpr 248
		.amdhsa_next_free_sgpr 24
		.amdhsa_reserve_vcc 1
		.amdhsa_float_round_mode_32 0
		.amdhsa_float_round_mode_16_64 0
		.amdhsa_float_denorm_mode_32 3
		.amdhsa_float_denorm_mode_16_64 3
		.amdhsa_fp16_overflow 0
		.amdhsa_workgroup_processor_mode 1
		.amdhsa_memory_ordered 1
		.amdhsa_forward_progress 0
		.amdhsa_round_robin_scheduling 0
		.amdhsa_exception_fp_ieee_invalid_op 0
		.amdhsa_exception_fp_denorm_src 0
		.amdhsa_exception_fp_ieee_div_zero 0
		.amdhsa_exception_fp_ieee_overflow 0
		.amdhsa_exception_fp_ieee_underflow 0
		.amdhsa_exception_fp_ieee_inexact 0
		.amdhsa_exception_int_div_zero 0
	.end_amdhsa_kernel
	.text
.Lfunc_end0:
	.size	bluestein_single_back_len1800_dim1_dp_op_CI_CI, .Lfunc_end0-bluestein_single_back_len1800_dim1_dp_op_CI_CI
                                        ; -- End function
	.section	.AMDGPU.csdata,"",@progbits
; Kernel info:
; codeLenInByte = 13372
; NumSgprs: 26
; NumVgprs: 248
; ScratchSize: 0
; MemoryBound: 0
; FloatMode: 240
; IeeeMode: 1
; LDSByteSize: 28800 bytes/workgroup (compile time only)
; SGPRBlocks: 3
; VGPRBlocks: 30
; NumSGPRsForWavesPerEU: 26
; NumVGPRsForWavesPerEU: 248
; Occupancy: 5
; WaveLimiterHint : 1
; COMPUTE_PGM_RSRC2:SCRATCH_EN: 0
; COMPUTE_PGM_RSRC2:USER_SGPR: 2
; COMPUTE_PGM_RSRC2:TRAP_HANDLER: 0
; COMPUTE_PGM_RSRC2:TGID_X_EN: 1
; COMPUTE_PGM_RSRC2:TGID_Y_EN: 0
; COMPUTE_PGM_RSRC2:TGID_Z_EN: 0
; COMPUTE_PGM_RSRC2:TIDIG_COMP_CNT: 0
	.text
	.p2alignl 7, 3214868480
	.fill 96, 4, 3214868480
	.type	__hip_cuid_1e00ea90f4c2a8f3,@object ; @__hip_cuid_1e00ea90f4c2a8f3
	.section	.bss,"aw",@nobits
	.globl	__hip_cuid_1e00ea90f4c2a8f3
__hip_cuid_1e00ea90f4c2a8f3:
	.byte	0                               ; 0x0
	.size	__hip_cuid_1e00ea90f4c2a8f3, 1

	.ident	"AMD clang version 19.0.0git (https://github.com/RadeonOpenCompute/llvm-project roc-6.4.0 25133 c7fe45cf4b819c5991fe208aaa96edf142730f1d)"
	.section	".note.GNU-stack","",@progbits
	.addrsig
	.addrsig_sym __hip_cuid_1e00ea90f4c2a8f3
	.amdgpu_metadata
---
amdhsa.kernels:
  - .args:
      - .actual_access:  read_only
        .address_space:  global
        .offset:         0
        .size:           8
        .value_kind:     global_buffer
      - .actual_access:  read_only
        .address_space:  global
        .offset:         8
        .size:           8
        .value_kind:     global_buffer
      - .actual_access:  read_only
        .address_space:  global
        .offset:         16
        .size:           8
        .value_kind:     global_buffer
      - .actual_access:  read_only
        .address_space:  global
        .offset:         24
        .size:           8
        .value_kind:     global_buffer
      - .actual_access:  read_only
        .address_space:  global
        .offset:         32
        .size:           8
        .value_kind:     global_buffer
      - .offset:         40
        .size:           8
        .value_kind:     by_value
      - .address_space:  global
        .offset:         48
        .size:           8
        .value_kind:     global_buffer
      - .address_space:  global
        .offset:         56
        .size:           8
        .value_kind:     global_buffer
      - .address_space:  global
        .offset:         64
        .size:           8
        .value_kind:     global_buffer
      - .address_space:  global
        .offset:         72
        .size:           8
        .value_kind:     global_buffer
      - .offset:         80
        .size:           4
        .value_kind:     by_value
      - .address_space:  global
        .offset:         88
        .size:           8
        .value_kind:     global_buffer
      - .address_space:  global
        .offset:         96
        .size:           8
        .value_kind:     global_buffer
    .group_segment_fixed_size: 28800
    .kernarg_segment_align: 8
    .kernarg_segment_size: 104
    .language:       OpenCL C
    .language_version:
      - 2
      - 0
    .max_flat_workgroup_size: 180
    .name:           bluestein_single_back_len1800_dim1_dp_op_CI_CI
    .private_segment_fixed_size: 0
    .sgpr_count:     26
    .sgpr_spill_count: 0
    .symbol:         bluestein_single_back_len1800_dim1_dp_op_CI_CI.kd
    .uniform_work_group_size: 1
    .uses_dynamic_stack: false
    .vgpr_count:     248
    .vgpr_spill_count: 0
    .wavefront_size: 32
    .workgroup_processor_mode: 1
amdhsa.target:   amdgcn-amd-amdhsa--gfx1201
amdhsa.version:
  - 1
  - 2
...

	.end_amdgpu_metadata
